;; amdgpu-corpus repo=ROCm/aiter kind=harvested arch=n/a opt=n/a

/root/src/amdgpu-assembly/repos/ROCm__aiter/hsa/gfx950/fmoe/silu/fmoe_bf16_blockscaleBf16_g1u1_vs_1tg_silu_16x256.co:	file format elf64-amdgpu

Disassembly of section .text:

0000000000002e00 <_ZN5aiter48fmoe_bf16_blockscaleBf16_g1u1_vs_pf2_silu_16x256E>:
	s_and_b32 s1, s1, 0xffff                                   // 000000002E00: 8601FF01 0000FFFF
	s_load_dwordx2 s[8:9], s[0:1], 0x0                         // 000000002E08: C0060200 00000000
	s_load_dwordx2 s[20:21], s[0:1], 0x10                      // 000000002E10: C0060500 00000010
	s_load_dwordx2 s[24:25], s[0:1], 0x20                      // 000000002E18: C0060600 00000020
	s_load_dwordx2 s[50:51], s[0:1], 0x30                      // 000000002E20: C0060C80 00000030
	s_load_dwordx2 s[12:13], s[0:1], 0x40                      // 000000002E28: C0060300 00000040
	s_load_dwordx2 s[28:29], s[0:1], 0x50                      // 000000002E30: C0060700 00000050
	s_load_dwordx2 s[32:33], s[0:1], 0x60                      // 000000002E38: C0060800 00000060
	s_load_dwordx2 s[16:17], s[0:1], 0x70                      // 000000002E40: C0060400 00000070
	s_load_dwordx2 s[36:37], s[0:1], 0x80                      // 000000002E48: C0060900 00000080
	s_load_dwordx2 s[44:45], s[0:1], 0x90                      // 000000002E50: C0060B00 00000090
	s_load_dwordx2 s[40:41], s[0:1], 0xa0                      // 000000002E58: C0060A00 000000A0
	s_load_dwordx2 s[46:47], s[0:1], 0xb0                      // 000000002E60: C0060B80 000000B0
	s_load_dword s64, s[0:1], 0xc0                             // 000000002E68: C0021000 000000C0
	s_load_dword s65, s[0:1], 0xd0                             // 000000002E70: C0021040 000000D0
	s_load_dword s66, s[0:1], 0xe0                             // 000000002E78: C0021080 000000E0
	s_load_dword s67, s[0:1], 0xf0                             // 000000002E80: C00210C0 000000F0
	s_load_dword s68, s[0:1], 0x100                            // 000000002E88: C0021100 00000100
	s_load_dword s69, s[0:1], 0x110                            // 000000002E90: C0021140 00000110
	s_load_dword s70, s[0:1], 0x120                            // 000000002E98: C0021180 00000120
	s_load_dword s71, s[0:1], 0x130                            // 000000002EA0: C00211C0 00000130
	s_load_dword s72, s[0:1], 0x140                            // 000000002EA8: C0021200 00000140
	s_load_dword s73, s[0:1], 0x150                            // 000000002EB0: C0021240 00000150
	s_load_dword s74, s[0:1], 0x160                            // 000000002EB8: C0021280 00000160
	s_load_dword s75, s[0:1], 0x170                            // 000000002EC0: C00212C0 00000170
	s_load_dword s76, s[0:1], 0x180                            // 000000002EC8: C0021300 00000180
	v_lshrrev_b32_e32 v1, 10, v0                               // 000000002ED0: 2002008A
	v_lshrrev_b32_e32 v2, 10, v1                               // 000000002ED4: 2004028A
	v_and_b32_e32 v2, 0x3ff, v2                                // 000000002ED8: 260404FF 000003FF
	v_and_b32_e32 v1, 0x3ff, v1                                // 000000002EE0: 260202FF 000003FF
	v_and_b32_e32 v0, 0x3ff, v0                                // 000000002EE8: 260000FF 000003FF
	v_lshrrev_b32_e32 v3, 6, v0                                // 000000002EF0: 20060086
	v_and_b32_e32 v0, 63, v0                                   // 000000002EF4: 260000BF
	s_mov_b32 s2, s2                                           // 000000002EF8: BE820002
	s_mov_b32 s3, s3                                           // 000000002EFC: BE830003
	s_mov_b32 s4, s4                                           // 000000002F00: BE840004
	v_readfirstlane_b32 s7, v3                                 // 000000002F04: 7E0E0503
	s_waitcnt lgkmcnt(0)                                       // 000000002F08: BF8CC07F
	s_and_b32 s51, s51, 0xffff                                 // 000000002F0C: 8633FF33 0000FFFF
	s_load_dword s50, s[50:51], 0x0                            // 000000002F14: C0020C99 00000000
	s_and_b32 s45, s45, 0xffff                                 // 000000002F1C: 862DFF2D 0000FFFF
	s_and_b32 s47, s47, 0xffff                                 // 000000002F24: 862FFF2F 0000FFFF
	s_and_b32 s9, s9, 0xffff                                   // 000000002F2C: 8609FF09 0000FFFF
	s_mul_i32 s60, s66, s68                                    // 000000002F34: 923C4442
	s_mul_i32 s61, s66, 4                                      // 000000002F38: 923D8442
	s_mov_b32 s22, s60                                         // 000000002F3C: BE96003C
	s_mov_b32 s26, -16                                         // 000000002F40: BE9A00D0
	s_mov_b32 s14, -16                                         // 000000002F44: BE8E00D0
	s_mov_b32 s42, -16                                         // 000000002F48: BEAA00D0
	s_mov_b32 s30, -16                                         // 000000002F4C: BE9E00D0
	s_mov_b32 s34, -16                                         // 000000002F50: BEA200D0
	s_mov_b32 s38, -16                                         // 000000002F54: BEA600D0
	s_mov_b32 s18, -16                                         // 000000002F58: BE9200D0
	s_mul_i32 s60, s66, s71                                    // 000000002F5C: 923C4742
	s_mov_b32 s10, s60                                         // 000000002F60: BE8A003C
	s_mov_b32 s23, 0x20000                                     // 000000002F64: BE9700FF 00020000
	s_mov_b32 s27, 0x20000                                     // 000000002F6C: BE9B00FF 00020000
	s_mov_b32 s15, 0x20000                                     // 000000002F74: BE8F00FF 00020000
	s_mov_b32 s43, 0x20000                                     // 000000002F7C: BEAB00FF 00020000
	s_mov_b32 s31, 0x20000                                     // 000000002F84: BE9F00FF 00020000
	s_mov_b32 s35, 0x20000                                     // 000000002F8C: BEA300FF 00020000
	s_mov_b32 s39, 0x20000                                     // 000000002F94: BEA700FF 00020000
	s_mov_b32 s19, 0x20000                                     // 000000002F9C: BE9300FF 00020000
	s_mov_b32 s11, 0x20000                                     // 000000002FA4: BE8B00FF 00020000
	s_and_b32 s21, s21, 0xffff                                 // 000000002FAC: 8615FF15 0000FFFF
	s_and_b32 s25, s25, 0xffff                                 // 000000002FB4: 8619FF19 0000FFFF
	s_and_b32 s13, s13, 0xffff                                 // 000000002FBC: 860DFF0D 0000FFFF
	s_and_b32 s41, s41, 0xffff                                 // 000000002FC4: 8629FF29 0000FFFF
	s_and_b32 s29, s29, 0xffff                                 // 000000002FCC: 861DFF1D 0000FFFF
	s_and_b32 s33, s33, 0xffff                                 // 000000002FD4: 8621FF21 0000FFFF
	s_and_b32 s37, s37, 0xffff                                 // 000000002FDC: 8625FF25 0000FFFF
	s_and_b32 s17, s17, 0xffff                                 // 000000002FE4: 8611FF11 0000FFFF
	s_or_b32 s21, s21, 0x40000                                 // 000000002FEC: 8715FF15 00040000
	s_or_b32 s25, s25, 0x40000                                 // 000000002FF4: 8719FF19 00040000
	s_or_b32 s13, s13, 0x40000                                 // 000000002FFC: 870DFF0D 00040000
	s_or_b32 s41, s41, 0x40000                                 // 000000003004: 8729FF29 00040000
	s_or_b32 s29, s29, 0x40000                                 // 00000000300C: 871DFF1D 00040000
	s_or_b32 s33, s33, 0x40000                                 // 000000003014: 8721FF21 00040000
	s_or_b32 s37, s37, 0x40000                                 // 00000000301C: 8725FF25 00040000
	s_or_b32 s17, s17, 0x40000                                 // 000000003024: 8711FF11 00040000
	v_accvgpr_write_b32 a255, 0                                // 00000000302C: D3D940FF 18000080
	v_mov_b32_e32 v191, 0                                      // 000000003034: 7F7E0280
	s_waitcnt lgkmcnt(0)                                       // 000000003038: BF8CC07F
	s_mul_i32 s60, s3, 16                                      // 00000000303C: 923C9003
	s_cmp_lt_i32 s60, s50                                      // 000000003040: BF04323C
	s_cbranch_scc0 label_1723                                  // 000000003044: BF841691
	s_lshr_b32 s60, s7, 1                                      // 000000003048: 8F3C8107
	s_lshl_b32 s60, s60, 3                                     // 00000000304C: 8E3C833C
	s_and_b32 s61, s7, 1                                       // 000000003050: 863D8107
	s_lshl_b32 s61, s61, 1                                     // 000000003054: 8E3D813D
	s_or_b32 s60, s60, s61                                     // 000000003058: 873C3D3C
	v_lshrrev_b32_e32 v46, 3, v0                               // 00000000305C: 205C0083
	v_and_b32_e32 v47, 2, v46                                  // 000000003060: 265E5C82
	v_lshlrev_b32_e32 v47, 1, v47                              // 000000003064: 245E5E81
	v_and_b32_e32 v48, 1, v46                                  // 000000003068: 26605C81
	v_or_b32_e32 v47, v47, v48                                 // 00000000306C: 285E612F
	v_add_u32_e32 v47, s60, v47                                // 000000003070: 685E5E3C
	v_and_b32_e32 v48, 3, v0                                   // 000000003074: 26600083
	v_lshlrev_b32_e32 v48, 4, v48                              // 000000003078: 24606084
	v_add_u32_e32 v47, v47, v48                                // 00000000307C: 685E612F
	v_lshrrev_b32_e32 v46, 5, v0                               // 000000003080: 205C0085
	v_lshlrev_b32_e32 v46, 8, v46                              // 000000003084: 245C5C88
	v_lshlrev_b32_e32 v47, 2, v47                              // 000000003088: 245E5E82
	v_add_u32_e32 v30, v46, v47                                // 00000000308C: 683C5F2E
	s_mov_b32 s80, 0                                           // 000000003090: BED00080
	s_mov_b32 s81, s64                                         // 000000003094: BED10040
	s_mul_i32 s60, s3, 4                                       // 000000003098: 923C8403
	s_add_u32 s46, s60, s46                                    // 00000000309C: 802E2E3C
	s_addc_u32 s47, 0, s47                                     // 0000000030A0: 822F2F80
	s_load_dword s5, s[46:47], 0x0                             // 0000000030A4: C0020157 00000000
	s_mul_i32 s60, s3, 16                                      // 0000000030AC: 923C9003
	s_mul_i32 s60, 4, s60                                      // 0000000030B0: 923C3C84
	v_and_b32_e32 v46, 15, v0                                  // 0000000030B4: 265C008F
	v_lshlrev_b32_e32 v46, 2, v46                              // 0000000030B8: 245C5C82
	v_add_u32_e32 v46, s60, v46                                // 0000000030BC: 685C5C3C
	v_mov_b32_e32 v47, 0                                       // 0000000030C0: 7E5E0280
	global_load_dword v7, v46, s[44:45]                        // 0000000030C4: DC508000 072C002E
	s_mul_i32 s60, s3, 16                                      // 0000000030CC: 923C9003
	s_lshr_b32 s61, s7, 1                                      // 0000000030D0: 8F3D8107
	s_mul_i32 s61, s61, 8                                      // 0000000030D4: 923D883D
	s_add_u32 s60, s61, s60                                    // 0000000030D8: 803C3C3D
	s_and_b32 s61, s7, 1                                       // 0000000030DC: 863D8107
	s_mul_i32 s61, s61, 2                                      // 0000000030E0: 923D823D
	s_add_u32 s60, s61, s60                                    // 0000000030E4: 803C3C3D
	s_mul_i32 s60, 4, s60                                      // 0000000030E8: 923C3C84
	s_add_u32 s44, s60, s44                                    // 0000000030EC: 802C2C3C
	s_addc_u32 s45, 0, s45                                     // 0000000030F0: 822D2D80
	s_load_dword s82, s[44:45], 0x0                            // 0000000030F4: C0021496 00000000
	s_load_dword s83, s[44:45], 0x4                            // 0000000030FC: C00214D6 00000004
	s_load_dword s84, s[44:45], 0x10                           // 000000003104: C0021516 00000010
	s_load_dword s85, s[44:45], 0x14                           // 00000000310C: C0021556 00000014
	s_waitcnt lgkmcnt(0)                                       // 000000003114: BF8CC07F
	s_and_b32 s82, s82, 0xffffff                               // 000000003118: 8652FF52 00FFFFFF
	s_mul_i32 s62, s82, s68                                    // 000000003120: 923E4452
	s_lshl_b32 s60, 0xff, 0                                    // 000000003124: 8E3C80FF 000000FF
	s_mov_b32 s61, 0                                           // 00000000312C: BEBD0080
	s_lshl_b32 s61, 0xff, 0                                    // 000000003130: 8E3D80FF 000000FF
	s_mov_b64 exec, s[60:61]                                   // 000000003138: BEFE013C
	v_mov_b32_e32 v31, s62                                     // 00000000313C: 7E3E023E
	s_and_b32 s83, s83, 0xffffff                               // 000000003140: 8653FF53 00FFFFFF
	s_mul_i32 s62, s83, s68                                    // 000000003148: 923E4453
	s_lshl_b32 s60, 0xff, 8                                    // 00000000314C: 8E3C88FF 000000FF
	s_lshl_b32 s61, 0xff, 8                                    // 000000003154: 8E3D88FF 000000FF
	s_mov_b64 exec, s[60:61]                                   // 00000000315C: BEFE013C
	v_mov_b32_e32 v31, s62                                     // 000000003160: 7E3E023E
	s_and_b32 s84, s84, 0xffffff                               // 000000003164: 8654FF54 00FFFFFF
	s_mul_i32 s62, s84, s68                                    // 00000000316C: 923E4454
	s_lshl_b32 s60, 0xff, 16                                   // 000000003170: 8E3C90FF 000000FF
	s_lshl_b32 s61, 0xff, 16                                   // 000000003178: 8E3D90FF 000000FF
	s_mov_b64 exec, s[60:61]                                   // 000000003180: BEFE013C
	v_mov_b32_e32 v31, s62                                     // 000000003184: 7E3E023E
	s_and_b32 s85, s85, 0xffffff                               // 000000003188: 8655FF55 00FFFFFF
	s_mul_i32 s62, s85, s68                                    // 000000003190: 923E4455
	s_lshl_b32 s60, 0xff, 24                                   // 000000003194: 8E3C98FF 000000FF
	s_lshl_b32 s61, 0xff, 24                                   // 00000000319C: 8E3D98FF 000000FF
	s_mov_b64 exec, s[60:61]                                   // 0000000031A4: BEFE013C
	v_mov_b32_e32 v31, s62                                     // 0000000031A8: 7E3E023E
	s_mov_b32 s60, -1                                          // 0000000031AC: BEBC00C1
	s_mov_b32 s61, -1                                          // 0000000031B0: BEBD00C1
	s_mov_b64 exec, s[60:61]                                   // 0000000031B4: BEFE013C
	v_and_b32_e64 v46, v0, 7                                   // 0000000031B8: D113002E 00010F00
	v_lshlrev_b32_e32 v46, 5, v46                              // 0000000031C0: 245C5C85
	v_add_u32_e32 v31, v31, v46                                // 0000000031C4: 683E5D1F
	s_mov_b32 s62, 0x100                                       // 0000000031C8: BEBE00FF 00000100
	s_mov_b32 s60, 0                                           // 0000000031D0: BEBC0080
	s_mov_b32 s61, -1                                          // 0000000031D4: BEBD00C1
	s_mov_b64 exec, s[60:61]                                   // 0000000031D8: BEFE013C
	v_add_u32_e64 v31, v31, s62                                // 0000000031DC: D134001F 00007D1F
	s_mov_b64 exec, -1                                         // 0000000031E4: BEFE01C1
	v_lshlrev_b32_e32 v46, 2, v0                               // 0000000031E8: 245C0082
	s_mul_i32 s60, s82, s71                                    // 0000000031EC: 923C4752
	v_add_u32_e64 v80, v46, s60                                // 0000000031F0: D1340050 0000792E
	v_mov_b32_e32 v81, 0                                       // 0000000031F8: 7EA20280
	s_mul_i32 s60, s83, s71                                    // 0000000031FC: 923C4753
	v_add_u32_e64 v82, v46, s60                                // 000000003200: D1340052 0000792E
	v_mov_b32_e32 v83, 0                                       // 000000003208: 7EA60280
	s_mul_i32 s60, s84, s71                                    // 00000000320C: 923C4754
	v_add_u32_e64 v84, v46, s60                                // 000000003210: D1340054 0000792E
	v_mov_b32_e32 v85, 0                                       // 000000003218: 7EAA0280
	s_mul_i32 s60, s85, s71                                    // 00000000321C: 923C4755
	v_add_u32_e64 v86, v46, s60                                // 000000003220: D1340056 0000792E
	v_mov_b32_e32 v87, 0                                       // 000000003228: 7EAE0280
	s_mul_i32 s60, s7, 0x420                                   // 00000000322C: 923CFF07 00000420
	s_add_u32 s50, 0, s60                                      // 000000003234: 80323C80
	s_add_u32 s51, 0x1500, s50                                 // 000000003238: 803332FF 00001500
	v_and_b32_e32 v46, 15, v0                                  // 000000003240: 265C008F
	v_lshrrev_b32_e32 v47, 3, v46                              // 000000003244: 205E5C83
	v_mul_lo_u32 v47, 2, v47                                   // 000000003248: D285002F 00025E82
	v_and_b32_e32 v46, 3, v0                                   // 000000003250: 265C0083
	v_lshrrev_b32_e32 v48, 1, v46                              // 000000003254: 20605C81
	v_add_u32_e32 v46, v47, v48                                // 000000003258: 685C612F
	v_mul_i32_i24_e32 v2, 0x420, v46                           // 00000000325C: 0C045CFF 00000420
	v_and_b32_e32 v46, 7, v0                                   // 000000003264: 265C0087
	v_lshrrev_b32_e32 v47, 2, v46                              // 000000003268: 205E5C82
	v_mul_i32_i24_e32 v47, 0x100, v47                          // 00000000326C: 0C5E5EFF 00000100
	v_and_b32_e32 v46, 1, v0                                   // 000000003274: 265C0081
	v_mul_i32_i24_e32 v48, 0x80, v46                           // 000000003278: 0C605CFF 00000080
	v_add_u32_e32 v2, v47, v2                                  // 000000003280: 6804052F
	v_add_u32_e32 v2, v48, v2                                  // 000000003284: 68040530
	v_lshrrev_b32_e32 v46, 4, v0                               // 000000003288: 205C0084
	v_mul_lo_u32 v46, 16, v46                                  // 00000000328C: D285002E 00025C90
	v_add_u32_e32 v2, v46, v2                                  // 000000003294: 6804052E
	s_mul_i32 s60, s2, 0x100                                   // 000000003298: 923CFF02 00000100
	s_mul_i32 s60, s60, s69                                    // 0000000032A0: 923C453C
	s_mul_i32 s61, s5, s72                                     // 0000000032A4: 923D4805
	s_add_u32 s60, s61, s60                                    // 0000000032A8: 803C3C3D
	s_add_u32 s24, s60, s24                                    // 0000000032AC: 8018183C
	s_addc_u32 s25, 0, s25                                     // 0000000032B0: 82191980
	s_mul_i32 s60, s7, 16                                      // 0000000032B4: 923C9007
	s_mul_i32 s60, s60, s69                                    // 0000000032B8: 923C453C
	v_lshlrev_b32_e32 v33, 4, v0                               // 0000000032BC: 24420084
	v_add_u32_e32 v33, s60, v33                                // 0000000032C0: 6842423C
	s_mul_i32 s60, 64, s69                                     // 0000000032C4: 923C45C0
	v_add_u32_e32 v34, s60, v33                                // 0000000032C8: 6844423C
	v_add_u32_e32 v35, s60, v34                                // 0000000032CC: 6846443C
	v_add_u32_e32 v36, s60, v35                                // 0000000032D0: 6848463C
	s_mov_b32 s92, s24                                         // 0000000032D4: BEDC0018
	s_mov_b32 s93, s25                                         // 0000000032D8: BEDD0019
	s_mov_b32 s94, s26                                         // 0000000032DC: BEDE001A
	s_mov_b32 s95, s27                                         // 0000000032E0: BEDF001B
	s_mul_i32 s60, s69, s65                                    // 0000000032E4: 923C4145
	s_add_u32 s92, s60, s92                                    // 0000000032E8: 805C5C3C
	s_addc_u32 s93, 0, s93                                     // 0000000032EC: 825D5D80
	s_mul_i32 s60, s2, 0x1000                                  // 0000000032F0: 923CFF02 00001000
	s_mul_i32 s61, s5, s73                                     // 0000000032F8: 923D4905
	s_add_u32 s60, s61, s60                                    // 0000000032FC: 803C3C3D
	s_add_u32 s12, s60, s12                                    // 000000003300: 800C0C3C
	s_addc_u32 s13, 0, s13                                     // 000000003304: 820D0D80
	s_mul_i32 s60, s7, 16                                      // 000000003308: 923C9007
	s_mul_i32 s60, s60, s70                                    // 00000000330C: 923C463C
	v_lshlrev_b32_e32 v37, 4, v0                               // 000000003310: 244A0084
	v_add_u32_e32 v37, s60, v37                                // 000000003314: 684A4A3C
	s_mul_i32 s60, 64, s70                                     // 000000003318: 923C46C0
	v_add_u32_e32 v38, s60, v37                                // 00000000331C: 684C4A3C
	v_add_u32_e32 v39, s60, v38                                // 000000003320: 684E4C3C
	v_add_u32_e32 v40, s60, v39                                // 000000003324: 68504E3C
	s_mul_i32 s60, s70, 0x100                                  // 000000003328: 923CFF46 00000100
	s_mov_b32 s78, 0x800                                       // 000000003330: BECE00FF 00000800
	s_mul_i32 s61, s78, 1                                      // 000000003338: 923D814E
	s_sub_u32 s56, s60, s61                                    // 00000000333C: 80B83D3C
	s_mul_i32 s60, s3, 16                                      // 000000003340: 923C9003
	s_mul_i32 s60, 4, s60                                      // 000000003344: 923C3C84
	s_add_u32 s40, s60, s40                                    // 000000003348: 8028283C
	s_addc_u32 s41, 0, s41                                     // 00000000334C: 82292980
	v_and_b32_e32 v46, 15, v0                                  // 000000003350: 265C008F
	v_lshlrev_b32_e32 v9, 2, v46                               // 000000003354: 24125C82
	v_add_u32_e32 v10, 64, v9                                  // 000000003358: 681412C0
	s_lshr_b32 s60, s64, 7                                     // 00000000335C: 8F3C8740
	s_mul_i32 s61, s60, 4                                      // 000000003360: 923D843C
	v_and_b32_e64 v11, v0, 1                                   // 000000003364: D113000B 00010300
	v_mul_lo_u32 v11, v11, s61                                 // 00000000336C: D285000B 00007B0B
	v_and_b32_e64 v46, v0, 3                                   // 000000003374: D113002E 00010700
	v_lshrrev_b32_e32 v46, 1, v46                              // 00000000337C: 205C5C81
	v_mul_lo_u32 v46, 4, v46                                   // 000000003380: D285002E 00025C84
	v_add_u32_e32 v11, v11, v46                                // 000000003388: 68165D0B
	s_lshr_b32 s60, s65, 7                                     // 00000000338C: 8F3C8741
	s_mul_i32 s60, s60, s61                                    // 000000003390: 923C3D3C
	v_add_u32_e64 v13, v11, s60                                // 000000003394: D134000D 0000790B
	s_mov_b32 s4, 8                                            // 00000000339C: BE840088
	s_mul_i32 s60, s2, 2                                       // 0000000033A0: 923C8202
	s_mul_i32 s60, s60, s61                                    // 0000000033A4: 923C3D3C
	s_mul_i32 s61, s5, s74                                     // 0000000033A8: 923D4A05
	s_add_u32 s61, s61, s60                                    // 0000000033AC: 803D3C3D
	s_add_u32 s32, s61, s32                                    // 0000000033B0: 8020203D
	s_addc_u32 s33, 0, s33                                     // 0000000033B4: 82212180
	s_lshr_b32 s60, s65, 7                                     // 0000000033B8: 8F3C8741
	s_mul_i32 s61, s60, 4                                      // 0000000033BC: 923D843C
	s_mul_i32 s60, s2, 2                                       // 0000000033C0: 923C8202
	s_mul_i32 s60, s60, 4                                      // 0000000033C4: 923C843C
	v_and_b32_e64 v6, v0, 1                                    // 0000000033C8: D1130006 00010300
	v_mul_lo_u32 v6, v6, s61                                   // 0000000033D0: D2850006 00007B06
	v_and_b32_e64 v46, v0, 3                                   // 0000000033D8: D113002E 00010700
	v_lshrrev_b32_e32 v46, 1, v46                              // 0000000033E0: 205C5C81
	v_mul_lo_u32 v46, 4, v46                                   // 0000000033E4: D285002E 00025C84
	v_add_i32 v6, v6, v46                                      // 0000000033EC: D29C0006 00025D06
	v_add_i32 v6, v6, s60                                      // 0000000033F4: D29C0006 00007906
	s_mul_i32 s60, s5, s75                                     // 0000000033FC: 923C4B05
	s_add_u32 s16, s60, s16                                    // 000000003400: 8010103C
	s_addc_u32 s17, 0, s17                                     // 000000003404: 82111180
	s_mov_b32 s57, 0x200                                       // 000000003408: BEB900FF 00000200
	s_mov_b32 s58, 0x1000                                      // 000000003410: BEBA00FF 00001000
	s_mul_i32 s79, 2, s61                                      // 000000003418: 924F3D82
	s_mov_b32 s59, 0                                           // 00000000341C: BEBB0080
	s_mov_b32 s90, s58                                         // 000000003420: BEDA003A
	s_mov_b32 s53, 0x7060302                                   // 000000003424: BEB500FF 07060302
	s_mov_b32 s54, 0x400                                       // 00000000342C: BEB600FF 00000400
	s_mov_b32 s55, 0x40100                                     // 000000003434: BEB700FF 00040100
	s_mov_b32 s63, 0x4020100                                   // 00000000343C: BEBF00FF 04020100
	s_mov_b32 s6, 0x3fb8aa3b                                   // 000000003444: BE8600FF 3FB8AA3B
	s_mov_b32 s77, 0xbd92220c                                  // 00000000344C: BECD00FF BD92220C
	s_mov_b32 m0, s50                                          // 000000003454: BEFC0032
	v_mov_b32_e32 v1, 0xbfcc4231                               // 000000003458: 7E0202FF BFCC4231
	v_mov_b32_e32 v42, 0xffff0000                              // 000000003460: 7E5402FF FFFF0000
	v_mov_b32_e32 v43, 0x7fff0000                              // 000000003468: 7E5602FF 7FFF0000
	v_mov_b32_e32 v44, 0x7fff                                  // 000000003470: 7E5802FF 00007FFF
	s_waitcnt vmcnt(0) expcnt(0) lgkmcnt(0)                    // 000000003478: BF8C0000
	v_and_b32_e32 v7, 0xffffff, v7                             // 00000000347C: 260E0EFF 00FFFFFF
	v_and_b32_e32 v8, 0xffffff, v8                             // 000000003484: 261010FF 00FFFFFF
	v_lshlrev_b32_e32 v7, 2, v7                                // 00000000348C: 240E0E82
	v_lshlrev_b32_e32 v8, 2, v8                                // 000000003490: 24101082
	v_lshlrev_b32_e32 v3, 2, v0                                // 000000003494: 24060082
	buffer_load_dword v23, v9, s[40:43], 0 offen               // 000000003498: E0501000 800A1709
	buffer_load_dword v24, v10, s[40:43], 0 offen              // 0000000034A0: E0501000 800A180A
	buffer_load_dwordx4 v[160:163], v31, s[20:23], 0 offen     // 0000000034A8: E05C1000 8005A01F
	buffer_load_dwordx4 v[164:167], v31, s[20:23], 0 offen offset:16// 0000000034B0: E05C1010 8005A41F
	s_add_u32 s20, s57, s20                                    // 0000000034B8: 80141439
	s_addc_u32 s21, 0, s21                                     // 0000000034BC: 82151580
	buffer_load_dword v19, v11, s[32:35], 0 offen              // 0000000034C0: E0501000 8008130B
	buffer_load_dword v21, v13, s[32:35], 0 offen              // 0000000034C8: E0501000 8008150D
	s_add_u32 s60, 0x100, s80                                  // 0000000034D0: 803C50FF 00000100
	s_cmp_lt_u32 s60, s81                                      // 0000000034D8: BF0A513C
	s_cselect_b32 s4, s4, 0                                    // 0000000034DC: 85048004
	s_add_u32 s32, s4, s32                                     // 0000000034E0: 80202004
	s_addc_u32 s33, 0, s33                                     // 0000000034E4: 82212180
	buffer_load_dwordx4 a[0:3], v33, s[24:27], 0 offen         // 0000000034E8: E05C1000 80860021
	buffer_load_dwordx4 a[4:7], v33, s[24:27], 0 offen offset:1024// 0000000034F0: E05C1400 80860421
	buffer_load_dwordx4 a[8:11], v34, s[24:27], 0 offen        // 0000000034F8: E05C1000 80860822
	buffer_load_dwordx4 a[12:15], v34, s[24:27], 0 offen offset:1024// 000000003500: E05C1400 80860C22
	buffer_load_dwordx4 a[16:19], v35, s[24:27], 0 offen       // 000000003508: E05C1000 80861023
	buffer_load_dwordx4 a[20:23], v35, s[24:27], 0 offen offset:1024// 000000003510: E05C1400 80861423
	buffer_load_dwordx4 a[24:27], v36, s[24:27], 0 offen       // 000000003518: E05C1000 80861824
	buffer_load_dwordx4 a[28:31], v36, s[24:27], 0 offen offset:1024// 000000003520: E05C1400 80861C24
	buffer_load_dwordx4 a[32:35], v33, s[24:27], 0 offen offset:2048// 000000003528: E05C1800 80862021
	buffer_load_dwordx4 a[36:39], v33, s[24:27], 0 offen offset:3072// 000000003530: E05C1C00 80862421
	buffer_load_dwordx4 a[40:43], v34, s[24:27], 0 offen offset:2048// 000000003538: E05C1800 80862822
	buffer_load_dwordx4 a[44:47], v34, s[24:27], 0 offen offset:3072// 000000003540: E05C1C00 80862C22
	buffer_load_dwordx4 a[48:51], v35, s[24:27], 0 offen offset:2048// 000000003548: E05C1800 80863023
	buffer_load_dwordx4 a[52:55], v35, s[24:27], 0 offen offset:3072// 000000003550: E05C1C00 80863423
	buffer_load_dwordx4 a[56:59], v36, s[24:27], 0 offen offset:2048// 000000003558: E05C1800 80863824
	buffer_load_dwordx4 a[60:63], v36, s[24:27], 0 offen offset:3072// 000000003560: E05C1C00 80863C24
	buffer_load_dwordx4 a[64:67], v33, s[92:95], 0 offen       // 000000003568: E05C1000 80974021
	buffer_load_dwordx4 a[68:71], v33, s[92:95], 0 offen offset:1024// 000000003570: E05C1400 80974421
	buffer_load_dwordx4 a[72:75], v34, s[92:95], 0 offen       // 000000003578: E05C1000 80974822
	buffer_load_dwordx4 a[76:79], v34, s[92:95], 0 offen offset:1024// 000000003580: E05C1400 80974C22
	buffer_load_dwordx4 a[80:83], v35, s[92:95], 0 offen       // 000000003588: E05C1000 80975023
	buffer_load_dwordx4 a[84:87], v35, s[92:95], 0 offen offset:1024// 000000003590: E05C1400 80975423
	buffer_load_dwordx4 a[88:91], v36, s[92:95], 0 offen       // 000000003598: E05C1000 80975824
	buffer_load_dwordx4 a[92:95], v36, s[92:95], 0 offen offset:1024// 0000000035A0: E05C1400 80975C24
	buffer_load_dwordx4 a[96:99], v33, s[92:95], 0 offen offset:2048// 0000000035A8: E05C1800 80976021
	buffer_load_dwordx4 a[100:103], v33, s[92:95], 0 offen offset:3072// 0000000035B0: E05C1C00 80976421
	buffer_load_dwordx4 a[104:107], v34, s[92:95], 0 offen offset:2048// 0000000035B8: E05C1800 80976822
	buffer_load_dwordx4 a[108:111], v34, s[92:95], 0 offen offset:3072// 0000000035C0: E05C1C00 80976C22
	buffer_load_dwordx4 a[112:115], v35, s[92:95], 0 offen offset:2048// 0000000035C8: E05C1800 80977023
	buffer_load_dwordx4 a[116:119], v35, s[92:95], 0 offen offset:3072// 0000000035D0: E05C1C00 80977423
	buffer_load_dwordx4 a[120:123], v36, s[92:95], 0 offen offset:2048// 0000000035D8: E05C1800 80977824
	buffer_load_dwordx4 a[124:127], v36, s[92:95], 0 offen offset:3072// 0000000035E0: E05C1C00 80977C24
	s_add_u32 s24, s58, s24                                    // 0000000035E8: 8018183A
	s_addc_u32 s25, 0, s25                                     // 0000000035EC: 82191980
	s_add_u32 s92, s90, s92                                    // 0000000035F0: 805C5C5A
	s_addc_u32 s93, 0, s93                                     // 0000000035F4: 825D5D80
	v_mov_b32_e32 v128, 0                                      // 0000000035F8: 7F000280
	v_mov_b32_e32 v64, 0                                       // 0000000035FC: 7E800280
	v_mov_b32_e32 v129, 0                                      // 000000003600: 7F020280
	v_mov_b32_e32 v65, 0                                       // 000000003604: 7E820280
	v_mov_b32_e32 v130, 0                                      // 000000003608: 7F040280
	v_mov_b32_e32 v66, 0                                       // 00000000360C: 7E840280
	v_mov_b32_e32 v131, 0                                      // 000000003610: 7F060280
	v_mov_b32_e32 v67, 0                                       // 000000003614: 7E860280
	v_mov_b32_e32 v132, 0                                      // 000000003618: 7F080280
	v_mov_b32_e32 v68, 0                                       // 00000000361C: 7E880280
	v_mov_b32_e32 v133, 0                                      // 000000003620: 7F0A0280
	v_mov_b32_e32 v69, 0                                       // 000000003624: 7E8A0280
	v_mov_b32_e32 v134, 0                                      // 000000003628: 7F0C0280
	v_mov_b32_e32 v70, 0                                       // 00000000362C: 7E8C0280
	v_mov_b32_e32 v135, 0                                      // 000000003630: 7F0E0280
	v_mov_b32_e32 v71, 0                                       // 000000003634: 7E8E0280
	v_mov_b32_e32 v136, 0                                      // 000000003638: 7F100280
	v_mov_b32_e32 v72, 0                                       // 00000000363C: 7E900280
	v_mov_b32_e32 v137, 0                                      // 000000003640: 7F120280
	v_mov_b32_e32 v73, 0                                       // 000000003644: 7E920280
	v_mov_b32_e32 v138, 0                                      // 000000003648: 7F140280
	v_mov_b32_e32 v74, 0                                       // 00000000364C: 7E940280
	v_mov_b32_e32 v139, 0                                      // 000000003650: 7F160280
	v_mov_b32_e32 v75, 0                                       // 000000003654: 7E960280
	v_mov_b32_e32 v140, 0                                      // 000000003658: 7F180280
	v_mov_b32_e32 v76, 0                                       // 00000000365C: 7E980280
	v_mov_b32_e32 v141, 0                                      // 000000003660: 7F1A0280
	v_mov_b32_e32 v77, 0                                       // 000000003664: 7E9A0280
	v_mov_b32_e32 v142, 0                                      // 000000003668: 7F1C0280
	v_mov_b32_e32 v78, 0                                       // 00000000366C: 7E9C0280
	v_mov_b32_e32 v143, 0                                      // 000000003670: 7F1E0280
	v_mov_b32_e32 v79, 0                                       // 000000003674: 7E9E0280
	v_mov_b32_e32 v144, 0                                      // 000000003678: 7F200280
	v_mov_b32_e32 v80, 0                                       // 00000000367C: 7EA00280
	v_mov_b32_e32 v145, 0                                      // 000000003680: 7F220280
	v_mov_b32_e32 v81, 0                                       // 000000003684: 7EA20280
	v_mov_b32_e32 v146, 0                                      // 000000003688: 7F240280
	v_mov_b32_e32 v82, 0                                       // 00000000368C: 7EA40280
	v_mov_b32_e32 v147, 0                                      // 000000003690: 7F260280
	v_mov_b32_e32 v83, 0                                       // 000000003694: 7EA60280
	v_mov_b32_e32 v148, 0                                      // 000000003698: 7F280280
	v_mov_b32_e32 v84, 0                                       // 00000000369C: 7EA80280
	v_mov_b32_e32 v149, 0                                      // 0000000036A0: 7F2A0280
	v_mov_b32_e32 v85, 0                                       // 0000000036A4: 7EAA0280
	v_mov_b32_e32 v150, 0                                      // 0000000036A8: 7F2C0280
	v_mov_b32_e32 v86, 0                                       // 0000000036AC: 7EAC0280
	v_mov_b32_e32 v151, 0                                      // 0000000036B0: 7F2E0280
	v_mov_b32_e32 v87, 0                                       // 0000000036B4: 7EAE0280
	v_mov_b32_e32 v152, 0                                      // 0000000036B8: 7F300280
	v_mov_b32_e32 v88, 0                                       // 0000000036BC: 7EB00280
	v_mov_b32_e32 v153, 0                                      // 0000000036C0: 7F320280
	v_mov_b32_e32 v89, 0                                       // 0000000036C4: 7EB20280
	v_mov_b32_e32 v154, 0                                      // 0000000036C8: 7F340280
	v_mov_b32_e32 v90, 0                                       // 0000000036CC: 7EB40280
	v_mov_b32_e32 v155, 0                                      // 0000000036D0: 7F360280
	v_mov_b32_e32 v91, 0                                       // 0000000036D4: 7EB60280
	v_mov_b32_e32 v156, 0                                      // 0000000036D8: 7F380280
	v_mov_b32_e32 v92, 0                                       // 0000000036DC: 7EB80280
	v_mov_b32_e32 v157, 0                                      // 0000000036E0: 7F3A0280
	v_mov_b32_e32 v93, 0                                       // 0000000036E4: 7EBA0280
	v_mov_b32_e32 v158, 0                                      // 0000000036E8: 7F3C0280
	v_mov_b32_e32 v94, 0                                       // 0000000036EC: 7EBC0280
	v_mov_b32_e32 v159, 0                                      // 0000000036F0: 7F3E0280
	v_mov_b32_e32 v95, 0                                       // 0000000036F4: 7EBE0280
	v_lshrrev_b32_e32 v46, 4, v0                               // 0000000036F8: 205C0084
	v_mul_lo_u32 v4, 34, v46                                   // 0000000036FC: D2850004 00025CA2
	v_and_b32_e32 v46, 15, v0                                  // 000000003704: 265C008F
	v_mul_lo_u32 v47, 2, v46                                   // 000000003708: D285002F 00025C82
	v_add_u32_e32 v4, v47, v4                                  // 000000003710: 6808092F
	s_mul_i32 s60, s7, 0x88                                    // 000000003714: 923CFF07 00000088
	v_add_u32_e32 v4, s60, v4                                  // 00000000371C: 6808083C
	v_lshlrev_b32_e32 v4, 2, v4                                // 000000003720: 24080882
	v_lshrrev_b32_e32 v46, 1, v0                               // 000000003724: 205C0081
	v_mul_lo_u32 v5, 34, v46                                   // 000000003728: D2850005 00025CA2
	v_and_b32_e32 v47, 1, v0                                   // 000000003730: 265E0081
	v_add_u32_e32 v5, v47, v5                                  // 000000003734: 680A0B2F
	s_mov_b32 s60, 0                                           // 000000003738: BEBC0080
	s_lshr_b32 s61, s7, 1                                      // 00000000373C: 8F3D8107
	s_mul_i32 s61, s61, 8                                      // 000000003740: 923D883D
	s_add_u32 s60, s61, s60                                    // 000000003744: 803C3C3D
	s_and_b32 s61, s7, 1                                       // 000000003748: 863D8107
	s_mul_i32 s61, s61, 2                                      // 00000000374C: 923D823D
	s_add_u32 s60, s61, s60                                    // 000000003750: 803C3C3D
	s_mul_i32 s60, 2, s60                                      // 000000003754: 923C3C82
	v_add_u32_e32 v5, s60, v5                                  // 000000003758: 680A0A3C
	v_lshlrev_b32_e32 v5, 2, v5                                // 00000000375C: 240A0A82
	s_waitcnt vmcnt(32)                                        // 000000003760: BF8C8F70
	v_mov_b32_e32 v26, 0                                       // 000000003764: 7E340280
	v_lshlrev_b32_e32 v46, 16, v160                            // 000000003768: 245D4090
	v_and_b32_e32 v47, 0xffff0000, v160                        // 00000000376C: 265F40FF FFFF0000
	v_max3_f32 v26, |v47|, |v46|, v26                          // 000000003774: D1D3031A 046A5D2F
	v_lshlrev_b32_e32 v46, 16, v161                            // 00000000377C: 245D4290
	v_and_b32_e32 v47, 0xffff0000, v161                        // 000000003780: 265F42FF FFFF0000
	v_max3_f32 v26, |v47|, |v46|, v26                          // 000000003788: D1D3031A 046A5D2F
	v_lshlrev_b32_e32 v46, 16, v162                            // 000000003790: 245D4490
	v_and_b32_e32 v47, 0xffff0000, v162                        // 000000003794: 265F44FF FFFF0000
	v_max3_f32 v26, |v47|, |v46|, v26                          // 00000000379C: D1D3031A 046A5D2F
	v_lshlrev_b32_e32 v46, 16, v163                            // 0000000037A4: 245D4690
	v_and_b32_e32 v47, 0xffff0000, v163                        // 0000000037A8: 265F46FF FFFF0000
	v_max3_f32 v26, |v47|, |v46|, v26                          // 0000000037B0: D1D3031A 046A5D2F
	v_lshlrev_b32_e32 v46, 16, v164                            // 0000000037B8: 245D4890
	v_and_b32_e32 v47, 0xffff0000, v164                        // 0000000037BC: 265F48FF FFFF0000
	v_max3_f32 v26, |v47|, |v46|, v26                          // 0000000037C4: D1D3031A 046A5D2F
	v_lshlrev_b32_e32 v46, 16, v165                            // 0000000037CC: 245D4A90
	v_and_b32_e32 v47, 0xffff0000, v165                        // 0000000037D0: 265F4AFF FFFF0000
	v_max3_f32 v26, |v47|, |v46|, v26                          // 0000000037D8: D1D3031A 046A5D2F
	v_lshlrev_b32_e32 v46, 16, v166                            // 0000000037E0: 245D4C90
	v_and_b32_e32 v47, 0xffff0000, v166                        // 0000000037E4: 265F4CFF FFFF0000
	v_max3_f32 v26, |v47|, |v46|, v26                          // 0000000037EC: D1D3031A 046A5D2F
	v_lshlrev_b32_e32 v46, 16, v167                            // 0000000037F4: 245D4E90
	v_and_b32_e32 v47, 0xffff0000, v167                        // 0000000037F8: 265F4EFF FFFF0000
	v_max3_f32 v26, |v47|, |v46|, v26                          // 000000003800: D1D3031A 046A5D2F
	s_barrier                                                  // 000000003808: BF8A0000
	v_max_f32_dpp v27, v26, v26 quad_perm:[1,2,3,0] row_mask:0xf bank_mask:0xf// 00000000380C: 163634FA FF00391A
	s_nop 1                                                    // 000000003814: BF800001
	v_max_f32_dpp v46, v27, v27 quad_perm:[2,3,0,1] row_mask:0xf bank_mask:0xf// 000000003818: 165C36FA FF004E1B
	s_nop 1                                                    // 000000003820: BF800001
	v_max_f32_dpp v26, v46, v46 row_half_mirror row_mask:0xf bank_mask:0xf// 000000003824: 16345CFA FF01412E
	v_rcp_f32_e32 v46, v26                                     // 00000000382C: 7E5C451A
	v_mov_b32_e32 v47, 0x43e00000                              // 000000003830: 7E5E02FF 43E00000
	v_mul_f32_e32 v27, v47, v46                                // 000000003838: 0A365D2F
	v_mov_b32_e32 v26, v27                                     // 00000000383C: 7E34031B
	v_lshlrev_b32_e32 v46, 16, v160                            // 000000003840: 245D4090
	v_and_b32_e32 v47, 0xffff0000, v160                        // 000000003844: 265F40FF FFFF0000
	v_pk_mul_f32 v[46:47], v[46:47], v[26:27]                  // 00000000384C: D3B1402E 1802352E
	v_cvt_pk_fp8_f32 v160, v46, v47                            // 000000003854: D2A200A0 00025F2E
	v_lshlrev_b32_e32 v46, 16, v161                            // 00000000385C: 245D4290
	v_and_b32_e32 v47, 0xffff0000, v161                        // 000000003860: 265F42FF FFFF0000
	v_pk_mul_f32 v[46:47], v[46:47], v[26:27]                  // 000000003868: D3B1402E 1802352E
	v_cvt_pk_fp8_f32 v160, v46, v47 op_sel:[0,0,1]             // 000000003870: D2A240A0 00025F2E
	v_lshlrev_b32_e32 v46, 16, v162                            // 000000003878: 245D4490
	v_and_b32_e32 v47, 0xffff0000, v162                        // 00000000387C: 265F44FF FFFF0000
	v_pk_mul_f32 v[46:47], v[46:47], v[26:27]                  // 000000003884: D3B1402E 1802352E
	v_cvt_pk_fp8_f32 v161, v46, v47                            // 00000000388C: D2A200A1 00025F2E
	v_lshlrev_b32_e32 v46, 16, v163                            // 000000003894: 245D4690
	v_and_b32_e32 v47, 0xffff0000, v163                        // 000000003898: 265F46FF FFFF0000
	v_pk_mul_f32 v[46:47], v[46:47], v[26:27]                  // 0000000038A0: D3B1402E 1802352E
	v_cvt_pk_fp8_f32 v161, v46, v47 op_sel:[0,0,1]             // 0000000038A8: D2A240A1 00025F2E
	v_lshlrev_b32_e32 v46, 16, v164                            // 0000000038B0: 245D4890
	v_and_b32_e32 v47, 0xffff0000, v164                        // 0000000038B4: 265F48FF FFFF0000
	v_pk_mul_f32 v[46:47], v[46:47], v[26:27]                  // 0000000038BC: D3B1402E 1802352E
	v_cvt_pk_fp8_f32 v162, v46, v47                            // 0000000038C4: D2A200A2 00025F2E
	v_lshlrev_b32_e32 v46, 16, v165                            // 0000000038CC: 245D4A90
	v_and_b32_e32 v47, 0xffff0000, v165                        // 0000000038D0: 265F4AFF FFFF0000
	v_pk_mul_f32 v[46:47], v[46:47], v[26:27]                  // 0000000038D8: D3B1402E 1802352E
	v_cvt_pk_fp8_f32 v162, v46, v47 op_sel:[0,0,1]             // 0000000038E0: D2A240A2 00025F2E
	v_lshlrev_b32_e32 v46, 16, v166                            // 0000000038E8: 245D4C90
	v_and_b32_e32 v47, 0xffff0000, v166                        // 0000000038EC: 265F4CFF FFFF0000
	v_pk_mul_f32 v[46:47], v[46:47], v[26:27]                  // 0000000038F4: D3B1402E 1802352E
	v_cvt_pk_fp8_f32 v163, v46, v47                            // 0000000038FC: D2A200A3 00025F2E
	v_lshlrev_b32_e32 v46, 16, v167                            // 000000003904: 245D4E90
	v_and_b32_e32 v47, 0xffff0000, v167                        // 000000003908: 265F4EFF FFFF0000
	v_pk_mul_f32 v[46:47], v[46:47], v[26:27]                  // 000000003910: D3B1402E 1802352E
	v_cvt_pk_fp8_f32 v163, v46, v47 op_sel:[0,0,1]             // 000000003918: D2A240A3 00025F2E
	v_lshlrev_b32_e32 v46, 4, v0                               // 000000003920: 245C0084
	v_add_u32_e64 v46, v46, s50                                // 000000003924: D134002E 0000652E
	ds_write_b128 v46, v[160:163]                              // 00000000392C: D9BE0000 0000A02E
	v_rcp_f32_e32 v28, v27                                     // 000000003934: 7E38451B
	v_add_u32_e32 v46, 0, v30                                  // 000000003938: 685C3C80
	s_mov_b64 s[60:61], exec                                   // 00000000393C: BEBC017E
	s_mov_b32 s62, 0xf0f0f0f                                   // 000000003940: BEBE00FF 0F0F0F0F
	s_mov_b32 s63, 0xf0f0f0f                                   // 000000003948: BEBF00FF 0F0F0F0F
	s_mov_b64 exec, s[62:63]                                   // 000000003950: BEFE013E
	ds_write_b32 v46, v28 offset:4352                          // 000000003954: D81A1100 00001C2E
	s_mov_b64 exec, s[60:61]                                   // 00000000395C: BEFE013C
	s_waitcnt lgkmcnt(0)                                       // 000000003960: BF8CC07F
	s_barrier                                                  // 000000003964: BF8A0000
	ds_read_b128 v[160:163], v2                                // 000000003968: D9FE0000 A0000002
	ds_read_b128 v[164:167], v2 offset:64                      // 000000003970: D9FE0040 A4000002
	ds_read_b128 v[168:171], v2 offset:512                     // 000000003978: D9FE0200 A8000002
	ds_read_b128 v[172:175], v2 offset:576                     // 000000003980: D9FE0240 AC000002
	ds_read_b32 v15, v3 offset:4352                            // 000000003988: D86C1100 0F000003
	ds_read_b32 v16, v3 offset:4608                            // 000000003990: D86C1200 10000003
	ds_read_b32 v17, v3 offset:4864                            // 000000003998: D86C1300 11000003
	ds_read_b32 v18, v3 offset:5120                            // 0000000039A0: D86C1400 12000003
	s_cmp_lt_i32 s7, 2                                         // 0000000039A8: BF048207
	s_cbranch_scc0 label_0CB0                                  // 0000000039AC: BF8409C4

00000000000039b0 <label_02EC>:
	s_waitcnt vmcnt(28) lgkmcnt(0)                             // 0000000039B0: BF8C407C
	s_barrier                                                  // 0000000039B4: BF8A0000
	v_mfma_f32_16x16x128_f8f6f4 v[144:147], a[0:7], v[160:167], 0// 0000000039B8: D3AD0090 0A034100
	v_mfma_f32_16x16x128_f8f6f4 v[148:151], a[8:15], v[160:167], 0// 0000000039C0: D3AD0094 0A034108
	buffer_load_dwordx4 v[176:179], v31, s[20:23], 0 offen     // 0000000039C8: E05C1000 8005B01F
	buffer_load_dwordx4 v[180:183], v31, s[20:23], 0 offen offset:16// 0000000039D0: E05C1010 8005B41F
	buffer_load_dword v20, v11, s[32:35], 0 offen              // 0000000039D8: E0501000 8008140B
	buffer_load_dword v22, v13, s[32:35], 0 offen              // 0000000039E0: E0501000 8008160D
	buffer_load_dwordx4 a[128:131], v33, s[24:27], 0 offen     // 0000000039E8: E05C1000 80868021
	buffer_load_dwordx4 a[132:135], v33, s[24:27], 0 offen offset:1024// 0000000039F0: E05C1400 80868421
	buffer_load_dwordx4 a[136:139], v34, s[24:27], 0 offen     // 0000000039F8: E05C1000 80868822
	buffer_load_dwordx4 a[140:143], v34, s[24:27], 0 offen offset:1024// 000000003A00: E05C1400 80868C22
	s_waitcnt vmcnt(20)                                        // 000000003A08: BF8C4F74
	v_mfma_f32_16x16x128_f8f6f4 v[152:155], a[16:23], v[160:167], 0// 000000003A0C: D3AD0098 0A034110
	v_mfma_f32_16x16x128_f8f6f4 v[156:159], a[24:31], v[160:167], 0// 000000003A14: D3AD009C 0A034118
	buffer_load_dwordx4 a[144:147], v35, s[24:27], 0 offen     // 000000003A1C: E05C1000 80869023
	buffer_load_dwordx4 a[148:151], v35, s[24:27], 0 offen offset:1024// 000000003A24: E05C1400 80869423
	buffer_load_dwordx4 a[152:155], v36, s[24:27], 0 offen     // 000000003A2C: E05C1000 80869824
	buffer_load_dwordx4 a[156:159], v36, s[24:27], 0 offen offset:1024// 000000003A34: E05C1400 80869C24
	v_mul_f32_dpp v46, v19, v15 row_newbcast:0 row_mask:0xf bank_mask:0xf// 000000003A3C: 0A5C1EFA FF015013
	v_mov_b32_e32 v47, v46                                     // 000000003A44: 7E5E032E
	v_pk_fma_f32 v[128:129], v[144:145], v[46:47], v[128:129]  // 000000003A48: D3B04080 1E025D90
	v_pk_fma_f32 v[130:131], v[146:147], v[46:47], v[130:131]  // 000000003A50: D3B04082 1E0A5D92
	v_pk_fma_f32 v[132:133], v[148:149], v[46:47], v[132:133]  // 000000003A58: D3B04084 1E125D94
	v_pk_fma_f32 v[134:135], v[150:151], v[46:47], v[134:135]  // 000000003A60: D3B04086 1E1A5D96
	v_mul_f32_dpp v46, v19, v15 row_newbcast:1 row_mask:0xf bank_mask:0xf// 000000003A68: 0A5C1EFA FF015113
	v_mov_b32_e32 v47, v46                                     // 000000003A70: 7E5E032E
	v_pk_fma_f32 v[136:137], v[152:153], v[46:47], v[136:137]  // 000000003A74: D3B04088 1E225D98
	v_pk_fma_f32 v[138:139], v[154:155], v[46:47], v[138:139]  // 000000003A7C: D3B0408A 1E2A5D9A
	v_pk_fma_f32 v[140:141], v[156:157], v[46:47], v[140:141]  // 000000003A84: D3B0408C 1E325D9C
	v_pk_fma_f32 v[142:143], v[158:159], v[46:47], v[142:143]  // 000000003A8C: D3B0408E 1E3A5D9E
	s_waitcnt vmcnt(20)                                        // 000000003A94: BF8C4F74
	v_mfma_f32_16x16x128_f8f6f4 v[144:147], a[32:39], v[168:175], 0// 000000003A98: D3AD0090 0A035120
	v_mfma_f32_16x16x128_f8f6f4 v[148:151], a[40:47], v[168:175], 0// 000000003AA0: D3AD0094 0A035128
	buffer_load_dwordx4 a[160:163], v33, s[24:27], 0 offen offset:2048// 000000003AA8: E05C1800 8086A021
	buffer_load_dwordx4 a[164:167], v33, s[24:27], 0 offen offset:3072// 000000003AB0: E05C1C00 8086A421
	buffer_load_dwordx4 a[168:171], v34, s[24:27], 0 offen offset:2048// 000000003AB8: E05C1800 8086A822
	buffer_load_dwordx4 a[172:175], v34, s[24:27], 0 offen offset:3072// 000000003AC0: E05C1C00 8086AC22
	s_waitcnt vmcnt(20)                                        // 000000003AC8: BF8C4F74
	v_mfma_f32_16x16x128_f8f6f4 v[152:155], a[48:55], v[168:175], 0// 000000003ACC: D3AD0098 0A035130
	v_mfma_f32_16x16x128_f8f6f4 v[156:159], a[56:63], v[168:175], 0// 000000003AD4: D3AD009C 0A035138
	buffer_load_dwordx4 a[176:179], v35, s[24:27], 0 offen offset:2048// 000000003ADC: E05C1800 8086B023
	buffer_load_dwordx4 a[180:183], v35, s[24:27], 0 offen offset:3072// 000000003AE4: E05C1C00 8086B423
	buffer_load_dwordx4 a[184:187], v36, s[24:27], 0 offen offset:2048// 000000003AEC: E05C1800 8086B824
	buffer_load_dwordx4 a[188:191], v36, s[24:27], 0 offen offset:3072// 000000003AF4: E05C1C00 8086BC24
	v_mul_f32_dpp v46, v19, v16 row_newbcast:2 row_mask:0xf bank_mask:0xf// 000000003AFC: 0A5C20FA FF015213
	v_mov_b32_e32 v47, v46                                     // 000000003B04: 7E5E032E
	v_pk_fma_f32 v[128:129], v[144:145], v[46:47], v[128:129]  // 000000003B08: D3B04080 1E025D90
	v_pk_fma_f32 v[130:131], v[146:147], v[46:47], v[130:131]  // 000000003B10: D3B04082 1E0A5D92
	v_pk_fma_f32 v[132:133], v[148:149], v[46:47], v[132:133]  // 000000003B18: D3B04084 1E125D94
	v_pk_fma_f32 v[134:135], v[150:151], v[46:47], v[134:135]  // 000000003B20: D3B04086 1E1A5D96
	v_mul_f32_dpp v46, v19, v16 row_newbcast:3 row_mask:0xf bank_mask:0xf// 000000003B28: 0A5C20FA FF015313
	v_mov_b32_e32 v47, v46                                     // 000000003B30: 7E5E032E
	v_pk_fma_f32 v[136:137], v[152:153], v[46:47], v[136:137]  // 000000003B34: D3B04088 1E225D98
	v_pk_fma_f32 v[138:139], v[154:155], v[46:47], v[138:139]  // 000000003B3C: D3B0408A 1E2A5D9A
	v_pk_fma_f32 v[140:141], v[156:157], v[46:47], v[140:141]  // 000000003B44: D3B0408C 1E325D9C
	v_pk_fma_f32 v[142:143], v[158:159], v[46:47], v[142:143]  // 000000003B4C: D3B0408E 1E3A5D9E
	s_add_u32 s60, 0x200, s80                                  // 000000003B54: 803C50FF 00000200
	s_cmp_lt_u32 s60, s81                                      // 000000003B5C: BF0A513C
	s_cselect_b32 s4, s4, 0                                    // 000000003B60: 85048004
	s_add_u32 s32, s4, s32                                     // 000000003B64: 80202004
	s_addc_u32 s33, 0, s33                                     // 000000003B68: 82212180
	s_waitcnt vmcnt(0)                                         // 000000003B6C: BF8C0F70
	s_barrier                                                  // 000000003B70: BF8A0000
	v_mfma_f32_16x16x128_f8f6f4 v[144:147], a[64:71], v[160:167], 0// 000000003B74: D3AD0090 0A034140
	v_mfma_f32_16x16x128_f8f6f4 v[148:151], a[72:79], v[160:167], 0// 000000003B7C: D3AD0094 0A034148
	buffer_load_dwordx4 a[192:195], v33, s[92:95], 0 offen     // 000000003B84: E05C1000 8097C021
	buffer_load_dwordx4 a[196:199], v33, s[92:95], 0 offen offset:1024// 000000003B8C: E05C1400 8097C421
	buffer_load_dwordx4 a[200:203], v34, s[92:95], 0 offen     // 000000003B94: E05C1000 8097C822
	buffer_load_dwordx4 a[204:207], v34, s[92:95], 0 offen offset:1024// 000000003B9C: E05C1400 8097CC22
	s_waitcnt vmcnt(4)                                         // 000000003BA4: BF8C0F74
	v_mfma_f32_16x16x128_f8f6f4 v[152:155], a[80:87], v[160:167], 0// 000000003BA8: D3AD0098 0A034150
	v_mfma_f32_16x16x128_f8f6f4 v[156:159], a[88:95], v[160:167], 0// 000000003BB0: D3AD009C 0A034158
	buffer_load_dwordx4 a[208:211], v35, s[92:95], 0 offen     // 000000003BB8: E05C1000 8097D023
	buffer_load_dwordx4 a[212:215], v35, s[92:95], 0 offen offset:1024// 000000003BC0: E05C1400 8097D423
	buffer_load_dwordx4 a[216:219], v36, s[92:95], 0 offen     // 000000003BC8: E05C1000 8097D824
	buffer_load_dwordx4 a[220:223], v36, s[92:95], 0 offen offset:1024// 000000003BD0: E05C1400 8097DC24
	s_waitcnt vmcnt(8)                                         // 000000003BD8: BF8C0F78
	v_mov_b32_e32 v26, 0                                       // 000000003BDC: 7E340280
	v_lshlrev_b32_e32 v46, 16, v176                            // 000000003BE0: 245D6090
	v_and_b32_e32 v47, 0xffff0000, v176                        // 000000003BE4: 265F60FF FFFF0000
	v_max3_f32 v26, |v47|, |v46|, v26                          // 000000003BEC: D1D3031A 046A5D2F
	v_lshlrev_b32_e32 v46, 16, v177                            // 000000003BF4: 245D6290
	v_and_b32_e32 v47, 0xffff0000, v177                        // 000000003BF8: 265F62FF FFFF0000
	v_max3_f32 v26, |v47|, |v46|, v26                          // 000000003C00: D1D3031A 046A5D2F
	v_lshlrev_b32_e32 v46, 16, v178                            // 000000003C08: 245D6490
	v_and_b32_e32 v47, 0xffff0000, v178                        // 000000003C0C: 265F64FF FFFF0000
	v_max3_f32 v26, |v47|, |v46|, v26                          // 000000003C14: D1D3031A 046A5D2F
	v_lshlrev_b32_e32 v46, 16, v179                            // 000000003C1C: 245D6690
	v_and_b32_e32 v47, 0xffff0000, v179                        // 000000003C20: 265F66FF FFFF0000
	v_max3_f32 v26, |v47|, |v46|, v26                          // 000000003C28: D1D3031A 046A5D2F
	v_lshlrev_b32_e32 v46, 16, v180                            // 000000003C30: 245D6890
	v_and_b32_e32 v47, 0xffff0000, v180                        // 000000003C34: 265F68FF FFFF0000
	v_max3_f32 v26, |v47|, |v46|, v26                          // 000000003C3C: D1D3031A 046A5D2F
	v_lshlrev_b32_e32 v46, 16, v181                            // 000000003C44: 245D6A90
	v_and_b32_e32 v47, 0xffff0000, v181                        // 000000003C48: 265F6AFF FFFF0000
	v_max3_f32 v26, |v47|, |v46|, v26                          // 000000003C50: D1D3031A 046A5D2F
	v_lshlrev_b32_e32 v46, 16, v182                            // 000000003C58: 245D6C90
	v_and_b32_e32 v47, 0xffff0000, v182                        // 000000003C5C: 265F6CFF FFFF0000
	v_max3_f32 v26, |v47|, |v46|, v26                          // 000000003C64: D1D3031A 046A5D2F
	v_lshlrev_b32_e32 v46, 16, v183                            // 000000003C6C: 245D6E90
	v_and_b32_e32 v47, 0xffff0000, v183                        // 000000003C70: 265F6EFF FFFF0000
	v_max3_f32 v26, |v47|, |v46|, v26                          // 000000003C78: D1D3031A 046A5D2F
	s_barrier                                                  // 000000003C80: BF8A0000
	v_max_f32_dpp v27, v26, v26 quad_perm:[1,2,3,0] row_mask:0xf bank_mask:0xf// 000000003C84: 163634FA FF00391A
	s_nop 1                                                    // 000000003C8C: BF800001
	v_max_f32_dpp v46, v27, v27 quad_perm:[2,3,0,1] row_mask:0xf bank_mask:0xf// 000000003C90: 165C36FA FF004E1B
	s_nop 1                                                    // 000000003C98: BF800001
	v_max_f32_dpp v26, v46, v46 row_half_mirror row_mask:0xf bank_mask:0xf// 000000003C9C: 16345CFA FF01412E
	v_rcp_f32_e32 v46, v26                                     // 000000003CA4: 7E5C451A
	v_mov_b32_e32 v47, 0x43e00000                              // 000000003CA8: 7E5E02FF 43E00000
	v_mul_f32_e32 v27, v47, v46                                // 000000003CB0: 0A365D2F
	v_mov_b32_e32 v26, v27                                     // 000000003CB4: 7E34031B
	v_lshlrev_b32_e32 v46, 16, v176                            // 000000003CB8: 245D6090
	v_and_b32_e32 v47, 0xffff0000, v176                        // 000000003CBC: 265F60FF FFFF0000
	v_pk_mul_f32 v[46:47], v[46:47], v[26:27]                  // 000000003CC4: D3B1402E 1802352E
	v_cvt_pk_fp8_f32 v176, v46, v47                            // 000000003CCC: D2A200B0 00025F2E
	v_lshlrev_b32_e32 v46, 16, v177                            // 000000003CD4: 245D6290
	v_and_b32_e32 v47, 0xffff0000, v177                        // 000000003CD8: 265F62FF FFFF0000
	v_pk_mul_f32 v[46:47], v[46:47], v[26:27]                  // 000000003CE0: D3B1402E 1802352E
	v_cvt_pk_fp8_f32 v176, v46, v47 op_sel:[0,0,1]             // 000000003CE8: D2A240B0 00025F2E
	v_lshlrev_b32_e32 v46, 16, v178                            // 000000003CF0: 245D6490
	v_and_b32_e32 v47, 0xffff0000, v178                        // 000000003CF4: 265F64FF FFFF0000
	v_pk_mul_f32 v[46:47], v[46:47], v[26:27]                  // 000000003CFC: D3B1402E 1802352E
	v_cvt_pk_fp8_f32 v177, v46, v47                            // 000000003D04: D2A200B1 00025F2E
	v_lshlrev_b32_e32 v46, 16, v179                            // 000000003D0C: 245D6690
	v_and_b32_e32 v47, 0xffff0000, v179                        // 000000003D10: 265F66FF FFFF0000
	v_pk_mul_f32 v[46:47], v[46:47], v[26:27]                  // 000000003D18: D3B1402E 1802352E
	v_cvt_pk_fp8_f32 v177, v46, v47 op_sel:[0,0,1]             // 000000003D20: D2A240B1 00025F2E
	v_lshlrev_b32_e32 v46, 16, v180                            // 000000003D28: 245D6890
	v_and_b32_e32 v47, 0xffff0000, v180                        // 000000003D2C: 265F68FF FFFF0000
	v_pk_mul_f32 v[46:47], v[46:47], v[26:27]                  // 000000003D34: D3B1402E 1802352E
	v_cvt_pk_fp8_f32 v178, v46, v47                            // 000000003D3C: D2A200B2 00025F2E
	v_lshlrev_b32_e32 v46, 16, v181                            // 000000003D44: 245D6A90
	v_and_b32_e32 v47, 0xffff0000, v181                        // 000000003D48: 265F6AFF FFFF0000
	v_pk_mul_f32 v[46:47], v[46:47], v[26:27]                  // 000000003D50: D3B1402E 1802352E
	v_cvt_pk_fp8_f32 v178, v46, v47 op_sel:[0,0,1]             // 000000003D58: D2A240B2 00025F2E
	v_lshlrev_b32_e32 v46, 16, v182                            // 000000003D60: 245D6C90
	v_and_b32_e32 v47, 0xffff0000, v182                        // 000000003D64: 265F6CFF FFFF0000
	v_pk_mul_f32 v[46:47], v[46:47], v[26:27]                  // 000000003D6C: D3B1402E 1802352E
	v_cvt_pk_fp8_f32 v179, v46, v47                            // 000000003D74: D2A200B3 00025F2E
	v_lshlrev_b32_e32 v46, 16, v183                            // 000000003D7C: 245D6E90
	v_and_b32_e32 v47, 0xffff0000, v183                        // 000000003D80: 265F6EFF FFFF0000
	v_pk_mul_f32 v[46:47], v[46:47], v[26:27]                  // 000000003D88: D3B1402E 1802352E
	v_cvt_pk_fp8_f32 v179, v46, v47 op_sel:[0,0,1]             // 000000003D90: D2A240B3 00025F2E
	v_lshlrev_b32_e32 v46, 4, v0                               // 000000003D98: 245C0084
	v_add_u32_e64 v46, v46, s51                                // 000000003D9C: D134002E 0000672E
	ds_write_b128 v46, v[176:179]                              // 000000003DA4: D9BE0000 0000B02E
	v_rcp_f32_e32 v28, v27                                     // 000000003DAC: 7E38451B
	v_add_u32_e32 v46, 0, v30                                  // 000000003DB0: 685C3C80
	s_mov_b64 s[60:61], exec                                   // 000000003DB4: BEBC017E
	s_mov_b32 s62, 0xf0f0f0f                                   // 000000003DB8: BEBE00FF 0F0F0F0F
	s_mov_b32 s63, 0xf0f0f0f                                   // 000000003DC0: BEBF00FF 0F0F0F0F
	s_mov_b64 exec, s[62:63]                                   // 000000003DC8: BEFE013E
	ds_write_b32 v46, v28 offset:9728                          // 000000003DCC: D81A2600 00001C2E
	s_mov_b64 exec, s[60:61]                                   // 000000003DD4: BEFE013C
	v_mul_f32_dpp v46, v21, v15 row_newbcast:0 row_mask:0xf bank_mask:0xf// 000000003DD8: 0A5C1EFA FF015015
	v_mov_b32_e32 v47, v46                                     // 000000003DE0: 7E5E032E
	v_pk_fma_f32 v[64:65], v[144:145], v[46:47], v[64:65]      // 000000003DE4: D3B04040 1D025D90
	v_pk_fma_f32 v[66:67], v[146:147], v[46:47], v[66:67]      // 000000003DEC: D3B04042 1D0A5D92
	v_pk_fma_f32 v[68:69], v[148:149], v[46:47], v[68:69]      // 000000003DF4: D3B04044 1D125D94
	v_pk_fma_f32 v[70:71], v[150:151], v[46:47], v[70:71]      // 000000003DFC: D3B04046 1D1A5D96
	v_mul_f32_dpp v46, v21, v15 row_newbcast:1 row_mask:0xf bank_mask:0xf// 000000003E04: 0A5C1EFA FF015115
	v_mov_b32_e32 v47, v46                                     // 000000003E0C: 7E5E032E
	v_pk_fma_f32 v[72:73], v[152:153], v[46:47], v[72:73]      // 000000003E10: D3B04048 1D225D98
	v_pk_fma_f32 v[74:75], v[154:155], v[46:47], v[74:75]      // 000000003E18: D3B0404A 1D2A5D9A
	v_pk_fma_f32 v[76:77], v[156:157], v[46:47], v[76:77]      // 000000003E20: D3B0404C 1D325D9C
	v_pk_fma_f32 v[78:79], v[158:159], v[46:47], v[78:79]      // 000000003E28: D3B0404E 1D3A5D9E
	s_waitcnt vmcnt(4)                                         // 000000003E30: BF8C0F74
	v_mfma_f32_16x16x128_f8f6f4 v[144:147], a[96:103], v[168:175], 0// 000000003E34: D3AD0090 0A035160
	s_waitcnt lgkmcnt(0)                                       // 000000003E3C: BF8CC07F
	s_barrier                                                  // 000000003E40: BF8A0000
	ds_read_b128 v[176:179], v2 offset:5376                    // 000000003E44: D9FE1500 B0000002
	ds_read_b128 v[180:183], v2 offset:5440                    // 000000003E4C: D9FE1540 B4000002
	ds_read_b32 v17, v3 offset:9728                            // 000000003E54: D86C2600 11000003
	v_mfma_f32_16x16x128_f8f6f4 v[148:151], a[104:111], v[168:175], 0// 000000003E5C: D3AD0094 0A035168
	buffer_load_dwordx4 a[224:227], v33, s[92:95], 0 offen offset:2048// 000000003E64: E05C1800 8097E021
	buffer_load_dwordx4 a[228:231], v33, s[92:95], 0 offen offset:3072// 000000003E6C: E05C1C00 8097E421
	buffer_load_dwordx4 a[232:235], v34, s[92:95], 0 offen offset:2048// 000000003E74: E05C1800 8097E822
	buffer_load_dwordx4 a[236:239], v34, s[92:95], 0 offen offset:3072// 000000003E7C: E05C1C00 8097EC22
	s_waitcnt vmcnt(4)                                         // 000000003E84: BF8C0F74
	v_mfma_f32_16x16x128_f8f6f4 v[152:155], a[112:119], v[168:175], 0// 000000003E88: D3AD0098 0A035170
	ds_read_b128 v[184:187], v2 offset:5888                    // 000000003E90: D9FE1700 B8000002
	ds_read_b128 v[188:191], v2 offset:5952                    // 000000003E98: D9FE1740 BC000002
	ds_read_b32 v18, v3 offset:9984                            // 000000003EA0: D86C2700 12000003
	v_mfma_f32_16x16x128_f8f6f4 v[156:159], a[120:127], v[168:175], 0// 000000003EA8: D3AD009C 0A035178
	buffer_load_dwordx4 a[240:243], v35, s[92:95], 0 offen offset:2048// 000000003EB0: E05C1800 8097F023
	buffer_load_dwordx4 a[244:247], v35, s[92:95], 0 offen offset:3072// 000000003EB8: E05C1C00 8097F423
	buffer_load_dwordx4 a[248:251], v36, s[92:95], 0 offen offset:2048// 000000003EC0: E05C1800 8097F824
	buffer_load_dwordx4 a[252:255], v36, s[92:95], 0 offen offset:3072// 000000003EC8: E05C1C00 8097FC24
	v_mul_f32_dpp v46, v21, v16 row_newbcast:2 row_mask:0xf bank_mask:0xf// 000000003ED0: 0A5C20FA FF015215
	v_mov_b32_e32 v47, v46                                     // 000000003ED8: 7E5E032E
	v_pk_fma_f32 v[64:65], v[144:145], v[46:47], v[64:65]      // 000000003EDC: D3B04040 1D025D90
	v_pk_fma_f32 v[66:67], v[146:147], v[46:47], v[66:67]      // 000000003EE4: D3B04042 1D0A5D92
	v_pk_fma_f32 v[68:69], v[148:149], v[46:47], v[68:69]      // 000000003EEC: D3B04044 1D125D94
	v_pk_fma_f32 v[70:71], v[150:151], v[46:47], v[70:71]      // 000000003EF4: D3B04046 1D1A5D96
	v_mul_f32_dpp v46, v21, v16 row_newbcast:3 row_mask:0xf bank_mask:0xf// 000000003EFC: 0A5C20FA FF015315
	v_mov_b32_e32 v47, v46                                     // 000000003F04: 7E5E032E
	v_pk_fma_f32 v[72:73], v[152:153], v[46:47], v[72:73]      // 000000003F08: D3B04048 1D225D98
	v_pk_fma_f32 v[74:75], v[154:155], v[46:47], v[74:75]      // 000000003F10: D3B0404A 1D2A5D9A
	v_pk_fma_f32 v[76:77], v[156:157], v[46:47], v[76:77]      // 000000003F18: D3B0404C 1D325D9C
	v_pk_fma_f32 v[78:79], v[158:159], v[46:47], v[78:79]      // 000000003F20: D3B0404E 1D3A5D9E
	s_add_u32 s60, 0x200, s80                                  // 000000003F28: 803C50FF 00000200
	s_cmp_lt_u32 s60, s81                                      // 000000003F30: BF0A513C
	s_cselect_b32 s57, s57, 0                                  // 000000003F34: 85398039
	s_add_u32 s60, 0x200, s80                                  // 000000003F38: 803C50FF 00000200
	s_cmp_lt_u32 s60, s81                                      // 000000003F40: BF0A513C
	s_cselect_b32 s58, s58, 0                                  // 000000003F44: 853A803A
	s_cselect_b32 s90, s90, 0                                  // 000000003F48: 855A805A
	s_add_u32 s20, s57, s20                                    // 000000003F4C: 80141439
	s_addc_u32 s21, 0, s21                                     // 000000003F50: 82151580
	s_add_u32 s24, s58, s24                                    // 000000003F54: 8018183A
	s_addc_u32 s25, 0, s25                                     // 000000003F58: 82191980
	s_add_u32 s92, s90, s92                                    // 000000003F5C: 805C5C5A
	s_addc_u32 s93, 0, s93                                     // 000000003F60: 825D5D80
	s_addk_i32 s80, 0x100                                      // 000000003F64: B7500100
	s_cmp_lt_i32 s80, s81                                      // 000000003F68: BF045150
	s_cbranch_scc0 label_05CD                                  // 000000003F6C: BF840171
	s_waitcnt vmcnt(28) lgkmcnt(0)                             // 000000003F70: BF8C407C
	s_barrier                                                  // 000000003F74: BF8A0000
	v_mfma_f32_16x16x128_f8f6f4 v[144:147], a[128:135], v[176:183], 0// 000000003F78: D3AD0090 0A036180
	v_mfma_f32_16x16x128_f8f6f4 v[148:151], a[136:143], v[176:183], 0// 000000003F80: D3AD0094 0A036188
	buffer_load_dwordx4 v[160:163], v31, s[20:23], 0 offen     // 000000003F88: E05C1000 8005A01F
	buffer_load_dwordx4 v[164:167], v31, s[20:23], 0 offen offset:16// 000000003F90: E05C1010 8005A41F
	buffer_load_dword v19, v11, s[32:35], 0 offen              // 000000003F98: E0501000 8008130B
	buffer_load_dword v21, v13, s[32:35], 0 offen              // 000000003FA0: E0501000 8008150D
	buffer_load_dwordx4 a[0:3], v33, s[24:27], 0 offen         // 000000003FA8: E05C1000 80860021
	buffer_load_dwordx4 a[4:7], v33, s[24:27], 0 offen offset:1024// 000000003FB0: E05C1400 80860421
	buffer_load_dwordx4 a[8:11], v34, s[24:27], 0 offen        // 000000003FB8: E05C1000 80860822
	buffer_load_dwordx4 a[12:15], v34, s[24:27], 0 offen offset:1024// 000000003FC0: E05C1400 80860C22
	s_waitcnt vmcnt(20)                                        // 000000003FC8: BF8C4F74
	v_mfma_f32_16x16x128_f8f6f4 v[152:155], a[144:151], v[176:183], 0// 000000003FCC: D3AD0098 0A036190
	v_mfma_f32_16x16x128_f8f6f4 v[156:159], a[152:159], v[176:183], 0// 000000003FD4: D3AD009C 0A036198
	buffer_load_dwordx4 a[16:19], v35, s[24:27], 0 offen       // 000000003FDC: E05C1000 80861023
	buffer_load_dwordx4 a[20:23], v35, s[24:27], 0 offen offset:1024// 000000003FE4: E05C1400 80861423
	buffer_load_dwordx4 a[24:27], v36, s[24:27], 0 offen       // 000000003FEC: E05C1000 80861824
	buffer_load_dwordx4 a[28:31], v36, s[24:27], 0 offen offset:1024// 000000003FF4: E05C1400 80861C24
	v_mul_f32_dpp v46, v20, v17 row_newbcast:0 row_mask:0xf bank_mask:0xf// 000000003FFC: 0A5C22FA FF015014
	v_mov_b32_e32 v47, v46                                     // 000000004004: 7E5E032E
	v_pk_fma_f32 v[128:129], v[144:145], v[46:47], v[128:129]  // 000000004008: D3B04080 1E025D90
	v_pk_fma_f32 v[130:131], v[146:147], v[46:47], v[130:131]  // 000000004010: D3B04082 1E0A5D92
	v_pk_fma_f32 v[132:133], v[148:149], v[46:47], v[132:133]  // 000000004018: D3B04084 1E125D94
	v_pk_fma_f32 v[134:135], v[150:151], v[46:47], v[134:135]  // 000000004020: D3B04086 1E1A5D96
	v_mul_f32_dpp v46, v20, v17 row_newbcast:1 row_mask:0xf bank_mask:0xf// 000000004028: 0A5C22FA FF015114
	v_mov_b32_e32 v47, v46                                     // 000000004030: 7E5E032E
	v_pk_fma_f32 v[136:137], v[152:153], v[46:47], v[136:137]  // 000000004034: D3B04088 1E225D98
	v_pk_fma_f32 v[138:139], v[154:155], v[46:47], v[138:139]  // 00000000403C: D3B0408A 1E2A5D9A
	v_pk_fma_f32 v[140:141], v[156:157], v[46:47], v[140:141]  // 000000004044: D3B0408C 1E325D9C
	v_pk_fma_f32 v[142:143], v[158:159], v[46:47], v[142:143]  // 00000000404C: D3B0408E 1E3A5D9E
	s_waitcnt vmcnt(20)                                        // 000000004054: BF8C4F74
	v_mfma_f32_16x16x128_f8f6f4 v[144:147], a[160:167], v[184:191], 0// 000000004058: D3AD0090 0A0371A0
	v_mfma_f32_16x16x128_f8f6f4 v[148:151], a[168:175], v[184:191], 0// 000000004060: D3AD0094 0A0371A8
	buffer_load_dwordx4 a[32:35], v33, s[24:27], 0 offen offset:2048// 000000004068: E05C1800 80862021
	buffer_load_dwordx4 a[36:39], v33, s[24:27], 0 offen offset:3072// 000000004070: E05C1C00 80862421
	buffer_load_dwordx4 a[40:43], v34, s[24:27], 0 offen offset:2048// 000000004078: E05C1800 80862822
	buffer_load_dwordx4 a[44:47], v34, s[24:27], 0 offen offset:3072// 000000004080: E05C1C00 80862C22
	s_waitcnt vmcnt(20)                                        // 000000004088: BF8C4F74
	v_mfma_f32_16x16x128_f8f6f4 v[152:155], a[176:183], v[184:191], 0// 00000000408C: D3AD0098 0A0371B0
	v_mfma_f32_16x16x128_f8f6f4 v[156:159], a[184:191], v[184:191], 0// 000000004094: D3AD009C 0A0371B8
	buffer_load_dwordx4 a[48:51], v35, s[24:27], 0 offen offset:2048// 00000000409C: E05C1800 80863023
	buffer_load_dwordx4 a[52:55], v35, s[24:27], 0 offen offset:3072// 0000000040A4: E05C1C00 80863423
	buffer_load_dwordx4 a[56:59], v36, s[24:27], 0 offen offset:2048// 0000000040AC: E05C1800 80863824
	buffer_load_dwordx4 a[60:63], v36, s[24:27], 0 offen offset:3072// 0000000040B4: E05C1C00 80863C24
	v_mul_f32_dpp v46, v20, v18 row_newbcast:2 row_mask:0xf bank_mask:0xf// 0000000040BC: 0A5C24FA FF015214
	v_mov_b32_e32 v47, v46                                     // 0000000040C4: 7E5E032E
	v_pk_fma_f32 v[128:129], v[144:145], v[46:47], v[128:129]  // 0000000040C8: D3B04080 1E025D90
	v_pk_fma_f32 v[130:131], v[146:147], v[46:47], v[130:131]  // 0000000040D0: D3B04082 1E0A5D92
	v_pk_fma_f32 v[132:133], v[148:149], v[46:47], v[132:133]  // 0000000040D8: D3B04084 1E125D94
	v_pk_fma_f32 v[134:135], v[150:151], v[46:47], v[134:135]  // 0000000040E0: D3B04086 1E1A5D96
	v_mul_f32_dpp v46, v20, v18 row_newbcast:3 row_mask:0xf bank_mask:0xf// 0000000040E8: 0A5C24FA FF015314
	v_mov_b32_e32 v47, v46                                     // 0000000040F0: 7E5E032E
	v_pk_fma_f32 v[136:137], v[152:153], v[46:47], v[136:137]  // 0000000040F4: D3B04088 1E225D98
	v_pk_fma_f32 v[138:139], v[154:155], v[46:47], v[138:139]  // 0000000040FC: D3B0408A 1E2A5D9A
	v_pk_fma_f32 v[140:141], v[156:157], v[46:47], v[140:141]  // 000000004104: D3B0408C 1E325D9C
	v_pk_fma_f32 v[142:143], v[158:159], v[46:47], v[142:143]  // 00000000410C: D3B0408E 1E3A5D9E
	s_add_u32 s60, 0x200, s80                                  // 000000004114: 803C50FF 00000200
	s_cmp_lt_u32 s60, s81                                      // 00000000411C: BF0A513C
	s_cselect_b32 s4, s4, 0                                    // 000000004120: 85048004
	s_add_u32 s32, s4, s32                                     // 000000004124: 80202004
	s_addc_u32 s33, 0, s33                                     // 000000004128: 82212180
	s_waitcnt vmcnt(0)                                         // 00000000412C: BF8C0F70
	s_barrier                                                  // 000000004130: BF8A0000
	v_mfma_f32_16x16x128_f8f6f4 v[144:147], a[192:199], v[176:183], 0// 000000004134: D3AD0090 0A0361C0
	v_mfma_f32_16x16x128_f8f6f4 v[148:151], a[200:207], v[176:183], 0// 00000000413C: D3AD0094 0A0361C8
	buffer_load_dwordx4 a[64:67], v33, s[92:95], 0 offen       // 000000004144: E05C1000 80974021
	buffer_load_dwordx4 a[68:71], v33, s[92:95], 0 offen offset:1024// 00000000414C: E05C1400 80974421
	buffer_load_dwordx4 a[72:75], v34, s[92:95], 0 offen       // 000000004154: E05C1000 80974822
	buffer_load_dwordx4 a[76:79], v34, s[92:95], 0 offen offset:1024// 00000000415C: E05C1400 80974C22
	s_waitcnt vmcnt(4)                                         // 000000004164: BF8C0F74
	v_mfma_f32_16x16x128_f8f6f4 v[152:155], a[208:215], v[176:183], 0// 000000004168: D3AD0098 0A0361D0
	v_mfma_f32_16x16x128_f8f6f4 v[156:159], a[216:223], v[176:183], 0// 000000004170: D3AD009C 0A0361D8
	buffer_load_dwordx4 a[80:83], v35, s[92:95], 0 offen       // 000000004178: E05C1000 80975023
	buffer_load_dwordx4 a[84:87], v35, s[92:95], 0 offen offset:1024// 000000004180: E05C1400 80975423
	buffer_load_dwordx4 a[88:91], v36, s[92:95], 0 offen       // 000000004188: E05C1000 80975824
	buffer_load_dwordx4 a[92:95], v36, s[92:95], 0 offen offset:1024// 000000004190: E05C1400 80975C24
	s_waitcnt vmcnt(8)                                         // 000000004198: BF8C0F78
	v_mov_b32_e32 v26, 0                                       // 00000000419C: 7E340280
	v_lshlrev_b32_e32 v46, 16, v160                            // 0000000041A0: 245D4090
	v_and_b32_e32 v47, 0xffff0000, v160                        // 0000000041A4: 265F40FF FFFF0000
	v_max3_f32 v26, |v47|, |v46|, v26                          // 0000000041AC: D1D3031A 046A5D2F
	v_lshlrev_b32_e32 v46, 16, v161                            // 0000000041B4: 245D4290
	v_and_b32_e32 v47, 0xffff0000, v161                        // 0000000041B8: 265F42FF FFFF0000
	v_max3_f32 v26, |v47|, |v46|, v26                          // 0000000041C0: D1D3031A 046A5D2F
	v_lshlrev_b32_e32 v46, 16, v162                            // 0000000041C8: 245D4490
	v_and_b32_e32 v47, 0xffff0000, v162                        // 0000000041CC: 265F44FF FFFF0000
	v_max3_f32 v26, |v47|, |v46|, v26                          // 0000000041D4: D1D3031A 046A5D2F
	v_lshlrev_b32_e32 v46, 16, v163                            // 0000000041DC: 245D4690
	v_and_b32_e32 v47, 0xffff0000, v163                        // 0000000041E0: 265F46FF FFFF0000
	v_max3_f32 v26, |v47|, |v46|, v26                          // 0000000041E8: D1D3031A 046A5D2F
	v_lshlrev_b32_e32 v46, 16, v164                            // 0000000041F0: 245D4890
	v_and_b32_e32 v47, 0xffff0000, v164                        // 0000000041F4: 265F48FF FFFF0000
	v_max3_f32 v26, |v47|, |v46|, v26                          // 0000000041FC: D1D3031A 046A5D2F
	v_lshlrev_b32_e32 v46, 16, v165                            // 000000004204: 245D4A90
	v_and_b32_e32 v47, 0xffff0000, v165                        // 000000004208: 265F4AFF FFFF0000
	v_max3_f32 v26, |v47|, |v46|, v26                          // 000000004210: D1D3031A 046A5D2F
	v_lshlrev_b32_e32 v46, 16, v166                            // 000000004218: 245D4C90
	v_and_b32_e32 v47, 0xffff0000, v166                        // 00000000421C: 265F4CFF FFFF0000
	v_max3_f32 v26, |v47|, |v46|, v26                          // 000000004224: D1D3031A 046A5D2F
	v_lshlrev_b32_e32 v46, 16, v167                            // 00000000422C: 245D4E90
	v_and_b32_e32 v47, 0xffff0000, v167                        // 000000004230: 265F4EFF FFFF0000
	v_max3_f32 v26, |v47|, |v46|, v26                          // 000000004238: D1D3031A 046A5D2F
	s_barrier                                                  // 000000004240: BF8A0000
	v_max_f32_dpp v27, v26, v26 quad_perm:[1,2,3,0] row_mask:0xf bank_mask:0xf// 000000004244: 163634FA FF00391A
	s_nop 1                                                    // 00000000424C: BF800001
	v_max_f32_dpp v46, v27, v27 quad_perm:[2,3,0,1] row_mask:0xf bank_mask:0xf// 000000004250: 165C36FA FF004E1B
	s_nop 1                                                    // 000000004258: BF800001
	v_max_f32_dpp v26, v46, v46 row_half_mirror row_mask:0xf bank_mask:0xf// 00000000425C: 16345CFA FF01412E
	v_rcp_f32_e32 v46, v26                                     // 000000004264: 7E5C451A
	v_mov_b32_e32 v47, 0x43e00000                              // 000000004268: 7E5E02FF 43E00000
	v_mul_f32_e32 v27, v47, v46                                // 000000004270: 0A365D2F
	v_mov_b32_e32 v26, v27                                     // 000000004274: 7E34031B
	v_lshlrev_b32_e32 v46, 16, v160                            // 000000004278: 245D4090
	v_and_b32_e32 v47, 0xffff0000, v160                        // 00000000427C: 265F40FF FFFF0000
	v_pk_mul_f32 v[46:47], v[46:47], v[26:27]                  // 000000004284: D3B1402E 1802352E
	v_cvt_pk_fp8_f32 v160, v46, v47                            // 00000000428C: D2A200A0 00025F2E
	v_lshlrev_b32_e32 v46, 16, v161                            // 000000004294: 245D4290
	v_and_b32_e32 v47, 0xffff0000, v161                        // 000000004298: 265F42FF FFFF0000
	v_pk_mul_f32 v[46:47], v[46:47], v[26:27]                  // 0000000042A0: D3B1402E 1802352E
	v_cvt_pk_fp8_f32 v160, v46, v47 op_sel:[0,0,1]             // 0000000042A8: D2A240A0 00025F2E
	v_lshlrev_b32_e32 v46, 16, v162                            // 0000000042B0: 245D4490
	v_and_b32_e32 v47, 0xffff0000, v162                        // 0000000042B4: 265F44FF FFFF0000
	v_pk_mul_f32 v[46:47], v[46:47], v[26:27]                  // 0000000042BC: D3B1402E 1802352E
	v_cvt_pk_fp8_f32 v161, v46, v47                            // 0000000042C4: D2A200A1 00025F2E
	v_lshlrev_b32_e32 v46, 16, v163                            // 0000000042CC: 245D4690
	v_and_b32_e32 v47, 0xffff0000, v163                        // 0000000042D0: 265F46FF FFFF0000
	v_pk_mul_f32 v[46:47], v[46:47], v[26:27]                  // 0000000042D8: D3B1402E 1802352E
	v_cvt_pk_fp8_f32 v161, v46, v47 op_sel:[0,0,1]             // 0000000042E0: D2A240A1 00025F2E
	v_lshlrev_b32_e32 v46, 16, v164                            // 0000000042E8: 245D4890
	v_and_b32_e32 v47, 0xffff0000, v164                        // 0000000042EC: 265F48FF FFFF0000
	v_pk_mul_f32 v[46:47], v[46:47], v[26:27]                  // 0000000042F4: D3B1402E 1802352E
	v_cvt_pk_fp8_f32 v162, v46, v47                            // 0000000042FC: D2A200A2 00025F2E
	v_lshlrev_b32_e32 v46, 16, v165                            // 000000004304: 245D4A90
	v_and_b32_e32 v47, 0xffff0000, v165                        // 000000004308: 265F4AFF FFFF0000
	v_pk_mul_f32 v[46:47], v[46:47], v[26:27]                  // 000000004310: D3B1402E 1802352E
	v_cvt_pk_fp8_f32 v162, v46, v47 op_sel:[0,0,1]             // 000000004318: D2A240A2 00025F2E
	v_lshlrev_b32_e32 v46, 16, v166                            // 000000004320: 245D4C90
	v_and_b32_e32 v47, 0xffff0000, v166                        // 000000004324: 265F4CFF FFFF0000
	v_pk_mul_f32 v[46:47], v[46:47], v[26:27]                  // 00000000432C: D3B1402E 1802352E
	v_cvt_pk_fp8_f32 v163, v46, v47                            // 000000004334: D2A200A3 00025F2E
	v_lshlrev_b32_e32 v46, 16, v167                            // 00000000433C: 245D4E90
	v_and_b32_e32 v47, 0xffff0000, v167                        // 000000004340: 265F4EFF FFFF0000
	v_pk_mul_f32 v[46:47], v[46:47], v[26:27]                  // 000000004348: D3B1402E 1802352E
	v_cvt_pk_fp8_f32 v163, v46, v47 op_sel:[0,0,1]             // 000000004350: D2A240A3 00025F2E
	v_lshlrev_b32_e32 v46, 4, v0                               // 000000004358: 245C0084
	v_add_u32_e64 v46, v46, s50                                // 00000000435C: D134002E 0000652E
	ds_write_b128 v46, v[160:163]                              // 000000004364: D9BE0000 0000A02E
	v_rcp_f32_e32 v28, v27                                     // 00000000436C: 7E38451B
	v_add_u32_e32 v46, 0, v30                                  // 000000004370: 685C3C80
	s_mov_b64 s[60:61], exec                                   // 000000004374: BEBC017E
	s_mov_b32 s62, 0xf0f0f0f                                   // 000000004378: BEBE00FF 0F0F0F0F
	s_mov_b32 s63, 0xf0f0f0f                                   // 000000004380: BEBF00FF 0F0F0F0F
	s_mov_b64 exec, s[62:63]                                   // 000000004388: BEFE013E
	ds_write_b32 v46, v28 offset:4352                          // 00000000438C: D81A1100 00001C2E
	s_mov_b64 exec, s[60:61]                                   // 000000004394: BEFE013C
	v_mul_f32_dpp v46, v22, v17 row_newbcast:0 row_mask:0xf bank_mask:0xf// 000000004398: 0A5C22FA FF015016
	v_mov_b32_e32 v47, v46                                     // 0000000043A0: 7E5E032E
	v_pk_fma_f32 v[64:65], v[144:145], v[46:47], v[64:65]      // 0000000043A4: D3B04040 1D025D90
	v_pk_fma_f32 v[66:67], v[146:147], v[46:47], v[66:67]      // 0000000043AC: D3B04042 1D0A5D92
	v_pk_fma_f32 v[68:69], v[148:149], v[46:47], v[68:69]      // 0000000043B4: D3B04044 1D125D94
	v_pk_fma_f32 v[70:71], v[150:151], v[46:47], v[70:71]      // 0000000043BC: D3B04046 1D1A5D96
	v_mul_f32_dpp v46, v22, v17 row_newbcast:1 row_mask:0xf bank_mask:0xf// 0000000043C4: 0A5C22FA FF015116
	v_mov_b32_e32 v47, v46                                     // 0000000043CC: 7E5E032E
	v_pk_fma_f32 v[72:73], v[152:153], v[46:47], v[72:73]      // 0000000043D0: D3B04048 1D225D98
	v_pk_fma_f32 v[74:75], v[154:155], v[46:47], v[74:75]      // 0000000043D8: D3B0404A 1D2A5D9A
	v_pk_fma_f32 v[76:77], v[156:157], v[46:47], v[76:77]      // 0000000043E0: D3B0404C 1D325D9C
	v_pk_fma_f32 v[78:79], v[158:159], v[46:47], v[78:79]      // 0000000043E8: D3B0404E 1D3A5D9E
	s_waitcnt vmcnt(4)                                         // 0000000043F0: BF8C0F74
	v_mfma_f32_16x16x128_f8f6f4 v[144:147], a[224:231], v[184:191], 0// 0000000043F4: D3AD0090 0A0371E0
	s_waitcnt lgkmcnt(0)                                       // 0000000043FC: BF8CC07F
	s_barrier                                                  // 000000004400: BF8A0000
	ds_read_b128 v[160:163], v2                                // 000000004404: D9FE0000 A0000002
	ds_read_b128 v[164:167], v2 offset:64                      // 00000000440C: D9FE0040 A4000002
	ds_read_b32 v15, v3 offset:4352                            // 000000004414: D86C1100 0F000003
	v_mfma_f32_16x16x128_f8f6f4 v[148:151], a[232:239], v[184:191], 0// 00000000441C: D3AD0094 0A0371E8
	buffer_load_dwordx4 a[96:99], v33, s[92:95], 0 offen offset:2048// 000000004424: E05C1800 80976021
	buffer_load_dwordx4 a[100:103], v33, s[92:95], 0 offen offset:3072// 00000000442C: E05C1C00 80976421
	buffer_load_dwordx4 a[104:107], v34, s[92:95], 0 offen offset:2048// 000000004434: E05C1800 80976822
	buffer_load_dwordx4 a[108:111], v34, s[92:95], 0 offen offset:3072// 00000000443C: E05C1C00 80976C22
	s_waitcnt vmcnt(4)                                         // 000000004444: BF8C0F74
	v_mfma_f32_16x16x128_f8f6f4 v[152:155], a[240:247], v[184:191], 0// 000000004448: D3AD0098 0A0371F0
	ds_read_b128 v[168:171], v2 offset:512                     // 000000004450: D9FE0200 A8000002
	ds_read_b128 v[172:175], v2 offset:576                     // 000000004458: D9FE0240 AC000002
	ds_read_b32 v16, v3 offset:4608                            // 000000004460: D86C1200 10000003
	v_mfma_f32_16x16x128_f8f6f4 v[156:159], a[248:255], v[184:191], 0// 000000004468: D3AD009C 0A0371F8
	buffer_load_dwordx4 a[112:115], v35, s[92:95], 0 offen offset:2048// 000000004470: E05C1800 80977023
	buffer_load_dwordx4 a[116:119], v35, s[92:95], 0 offen offset:3072// 000000004478: E05C1C00 80977423
	buffer_load_dwordx4 a[120:123], v36, s[92:95], 0 offen offset:2048// 000000004480: E05C1800 80977824
	buffer_load_dwordx4 a[124:127], v36, s[92:95], 0 offen offset:3072// 000000004488: E05C1C00 80977C24
	v_mul_f32_dpp v46, v22, v18 row_newbcast:2 row_mask:0xf bank_mask:0xf// 000000004490: 0A5C24FA FF015216
	v_mov_b32_e32 v47, v46                                     // 000000004498: 7E5E032E
	v_pk_fma_f32 v[64:65], v[144:145], v[46:47], v[64:65]      // 00000000449C: D3B04040 1D025D90
	v_pk_fma_f32 v[66:67], v[146:147], v[46:47], v[66:67]      // 0000000044A4: D3B04042 1D0A5D92
	v_pk_fma_f32 v[68:69], v[148:149], v[46:47], v[68:69]      // 0000000044AC: D3B04044 1D125D94
	v_pk_fma_f32 v[70:71], v[150:151], v[46:47], v[70:71]      // 0000000044B4: D3B04046 1D1A5D96
	v_mul_f32_dpp v46, v22, v18 row_newbcast:3 row_mask:0xf bank_mask:0xf// 0000000044BC: 0A5C24FA FF015316
	v_mov_b32_e32 v47, v46                                     // 0000000044C4: 7E5E032E
	v_pk_fma_f32 v[72:73], v[152:153], v[46:47], v[72:73]      // 0000000044C8: D3B04048 1D225D98
	v_pk_fma_f32 v[74:75], v[154:155], v[46:47], v[74:75]      // 0000000044D0: D3B0404A 1D2A5D9A
	v_pk_fma_f32 v[76:77], v[156:157], v[46:47], v[76:77]      // 0000000044D8: D3B0404C 1D325D9C
	v_pk_fma_f32 v[78:79], v[158:159], v[46:47], v[78:79]      // 0000000044E0: D3B0404E 1D3A5D9E
	s_add_u32 s60, 0x200, s80                                  // 0000000044E8: 803C50FF 00000200
	s_cmp_lt_u32 s60, s81                                      // 0000000044F0: BF0A513C
	s_cselect_b32 s57, s57, 0                                  // 0000000044F4: 85398039
	s_add_u32 s60, 0x200, s80                                  // 0000000044F8: 803C50FF 00000200
	s_cmp_lt_u32 s60, s81                                      // 000000004500: BF0A513C
	s_cselect_b32 s58, s58, 0                                  // 000000004504: 853A803A
	s_cselect_b32 s90, s90, 0                                  // 000000004508: 855A805A
	s_add_u32 s20, s57, s20                                    // 00000000450C: 80141439
	s_addc_u32 s21, 0, s21                                     // 000000004510: 82151580
	s_add_u32 s24, s58, s24                                    // 000000004514: 8018183A
	s_addc_u32 s25, 0, s25                                     // 000000004518: 82191980
	s_add_u32 s92, s90, s92                                    // 00000000451C: 805C5C5A
	s_addc_u32 s93, 0, s93                                     // 000000004520: 825D5D80
	s_addk_i32 s80, 0x100                                      // 000000004524: B7500100
	s_cmp_lt_i32 s80, s81                                      // 000000004528: BF045150
	s_cbranch_scc0 label_05CD                                  // 00000000452C: BF840001
	s_branch label_02EC                                        // 000000004530: BF82FD1F

0000000000004534 <label_05CD>:
	s_mov_b32 s20, 0                                           // 000000004534: BE940080
	s_cmp_lt_u32 s89, s66                                      // 000000004538: BF0A4259
	s_cselect_b32 s60, 0, 1                                    // 00000000453C: 853C8180
	s_lshl1_add_u32 s20, s20, s60                              // 000000004540: 97143C14
	s_cmp_lt_u32 s88, s66                                      // 000000004544: BF0A4258
	s_cselect_b32 s60, 0, 1                                    // 000000004548: 853C8180
	s_lshl1_add_u32 s20, s20, s60                              // 00000000454C: 97143C14
	s_cmp_lt_u32 s87, s66                                      // 000000004550: BF0A4257
	s_cselect_b32 s60, 0, 1                                    // 000000004554: 853C8180
	s_lshl1_add_u32 s20, s20, s60                              // 000000004558: 97143C14
	s_cmp_lt_u32 s86, s66                                      // 00000000455C: BF0A4256
	s_cselect_b32 s60, 0, 1                                    // 000000004560: 853C8180
	s_lshl1_add_u32 s20, s20, s60                              // 000000004564: 97143C14
	s_cmp_lt_u32 s85, s66                                      // 000000004568: BF0A4255
	s_cselect_b32 s60, 0, 1                                    // 00000000456C: 853C8180
	s_lshl1_add_u32 s20, s20, s60                              // 000000004570: 97143C14
	s_cmp_lt_u32 s84, s66                                      // 000000004574: BF0A4254
	s_cselect_b32 s60, 0, 1                                    // 000000004578: 853C8180
	s_lshl1_add_u32 s20, s20, s60                              // 00000000457C: 97143C14
	s_cmp_lt_u32 s83, s66                                      // 000000004580: BF0A4253
	s_cselect_b32 s60, 0, 1                                    // 000000004584: 853C8180
	s_lshl1_add_u32 s20, s20, s60                              // 000000004588: 97143C14
	s_cmp_lt_u32 s82, s66                                      // 00000000458C: BF0A4252
	s_cselect_b32 s60, 0, 1                                    // 000000004590: 853C8180
	s_lshl1_add_u32 s20, s20, s60                              // 000000004594: 97143C14
	s_waitcnt vmcnt(12)                                        // 000000004598: BF8C0F7C
	buffer_load_dword v19, v6, s[16:19], 0 offen               // 00000000459C: E0501000 80041306
	s_add_u32 s16, s79, s16                                    // 0000000045A4: 8010104F
	s_addc_u32 s17, 0, s17                                     // 0000000045A8: 82111180
	buffer_load_dwordx4 a[0:3], v37, s[12:15], 0 offen         // 0000000045AC: E05C1000 80830025
	buffer_load_dwordx4 a[4:7], v37, s[12:15], 0 offen offset:1024// 0000000045B4: E05C1400 80830425
	buffer_load_dwordx4 a[8:11], v38, s[12:15], 0 offen        // 0000000045BC: E05C1000 80830826
	buffer_load_dwordx4 a[12:15], v38, s[12:15], 0 offen offset:1024// 0000000045C4: E05C1400 80830C26
	v_mul_f32_e64 v46, -v128, s6                               // 0000000045CC: D105002E 20000D80
	v_mul_f32_e64 v47, -v129, s6                               // 0000000045D4: D105002F 20000D81
	v_mul_f32_e64 v48, -v130, s6                               // 0000000045DC: D1050030 20000D82
	v_mul_f32_e64 v49, -v131, s6                               // 0000000045E4: D1050031 20000D83
	v_exp_f32_e32 v46, v46                                     // 0000000045EC: 7E5C412E
	v_exp_f32_e32 v47, v47                                     // 0000000045F0: 7E5E412F
	v_exp_f32_e32 v48, v48                                     // 0000000045F4: 7E604130
	v_exp_f32_e32 v49, v49                                     // 0000000045F8: 7E624131
	buffer_load_dwordx4 a[16:19], v39, s[12:15], 0 offen       // 0000000045FC: E05C1000 80831027
	buffer_load_dwordx4 a[20:23], v39, s[12:15], 0 offen offset:1024// 000000004604: E05C1400 80831427
	buffer_load_dwordx4 a[24:27], v40, s[12:15], 0 offen       // 00000000460C: E05C1000 80831828
	buffer_load_dwordx4 a[28:31], v40, s[12:15], 0 offen offset:1024// 000000004614: E05C1400 80831C28
	s_add_u32 s12, s78, s12                                    // 00000000461C: 800C0C4E
	s_addc_u32 s13, 0, s13                                     // 000000004620: 820D0D80
	v_add_f32_e64 v46, v46, 1.0                                // 000000004624: D101002E 0001E52E
	v_add_f32_e64 v47, v47, 1.0                                // 00000000462C: D101002F 0001E52F
	v_add_f32_e64 v48, v48, 1.0                                // 000000004634: D1010030 0001E530
	v_add_f32_e64 v49, v49, 1.0                                // 00000000463C: D1010031 0001E531
	v_rcp_f32_e32 v46, v46                                     // 000000004644: 7E5C452E
	v_rcp_f32_e32 v47, v47                                     // 000000004648: 7E5E452F
	v_rcp_f32_e32 v48, v48                                     // 00000000464C: 7E604530
	v_rcp_f32_e32 v49, v49                                     // 000000004650: 7E624531
	v_mul_f32_e32 v128, v128, v46                              // 000000004654: 0B005D80
	v_mul_f32_e32 v129, v129, v47                              // 000000004658: 0B025F81
	v_mul_f32_e32 v130, v130, v48                              // 00000000465C: 0B046182
	v_mul_f32_e32 v131, v131, v49                              // 000000004660: 0B066383
	v_mul_f32_e32 v128, v128, v64                              // 000000004664: 0B008180
	v_mul_f32_e32 v129, v129, v65                              // 000000004668: 0B028381
	v_mul_f32_e32 v130, v130, v66                              // 00000000466C: 0B048582
	v_mul_f32_e32 v131, v131, v67                              // 000000004670: 0B068783
	s_waitcnt vmcnt(12)                                        // 000000004674: BF8C0F7C
	buffer_load_dwordx4 a[32:35], v37, s[12:15], 0 offen       // 000000004678: E05C1000 80832025
	buffer_load_dwordx4 a[36:39], v37, s[12:15], 0 offen offset:1024// 000000004680: E05C1400 80832425
	buffer_load_dwordx4 a[40:43], v38, s[12:15], 0 offen       // 000000004688: E05C1000 80832826
	buffer_load_dwordx4 a[44:47], v38, s[12:15], 0 offen offset:1024// 000000004690: E05C1400 80832C26
	v_mul_f32_e64 v46, -v132, s6                               // 000000004698: D105002E 20000D84
	v_mul_f32_e64 v47, -v133, s6                               // 0000000046A0: D105002F 20000D85
	v_mul_f32_e64 v48, -v134, s6                               // 0000000046A8: D1050030 20000D86
	v_mul_f32_e64 v49, -v135, s6                               // 0000000046B0: D1050031 20000D87
	v_exp_f32_e32 v46, v46                                     // 0000000046B8: 7E5C412E
	v_exp_f32_e32 v47, v47                                     // 0000000046BC: 7E5E412F
	v_exp_f32_e32 v48, v48                                     // 0000000046C0: 7E604130
	v_exp_f32_e32 v49, v49                                     // 0000000046C4: 7E624131
	buffer_load_dwordx4 a[48:51], v39, s[12:15], 0 offen       // 0000000046C8: E05C1000 80833027
	buffer_load_dwordx4 a[52:55], v39, s[12:15], 0 offen offset:1024// 0000000046D0: E05C1400 80833427
	buffer_load_dwordx4 a[56:59], v40, s[12:15], 0 offen       // 0000000046D8: E05C1000 80833828
	buffer_load_dwordx4 a[60:63], v40, s[12:15], 0 offen offset:1024// 0000000046E0: E05C1400 80833C28
	s_add_u32 s12, s56, s12                                    // 0000000046E8: 800C0C38
	s_addc_u32 s13, 0, s13                                     // 0000000046EC: 820D0D80
	v_add_f32_e64 v46, v46, 1.0                                // 0000000046F0: D101002E 0001E52E
	v_add_f32_e64 v47, v47, 1.0                                // 0000000046F8: D101002F 0001E52F
	v_add_f32_e64 v48, v48, 1.0                                // 000000004700: D1010030 0001E530
	v_add_f32_e64 v49, v49, 1.0                                // 000000004708: D1010031 0001E531
	v_rcp_f32_e32 v46, v46                                     // 000000004710: 7E5C452E
	v_rcp_f32_e32 v47, v47                                     // 000000004714: 7E5E452F
	v_rcp_f32_e32 v48, v48                                     // 000000004718: 7E604530
	v_rcp_f32_e32 v49, v49                                     // 00000000471C: 7E624531
	v_mul_f32_e32 v132, v132, v46                              // 000000004720: 0B085D84
	v_mul_f32_e32 v133, v133, v47                              // 000000004724: 0B0A5F85
	v_mul_f32_e32 v134, v134, v48                              // 000000004728: 0B0C6186
	v_mul_f32_e32 v135, v135, v49                              // 00000000472C: 0B0E6387
	v_mul_f32_e32 v132, v132, v68                              // 000000004730: 0B088984
	v_mul_f32_e32 v133, v133, v69                              // 000000004734: 0B0A8B85
	v_mul_f32_e32 v134, v134, v70                              // 000000004738: 0B0C8D86
	v_mul_f32_e32 v135, v135, v71                              // 00000000473C: 0B0E8F87
	s_waitcnt vmcnt(12)                                        // 000000004740: BF8C0F7C
	buffer_load_dword v20, v6, s[16:19], 0 offen               // 000000004744: E0501000 80041406
	s_add_u32 s16, s79, s16                                    // 00000000474C: 8010104F
	s_addc_u32 s17, 0, s17                                     // 000000004750: 82111180
	buffer_load_dwordx4 a[64:67], v37, s[12:15], 0 offen       // 000000004754: E05C1000 80834025
	buffer_load_dwordx4 a[68:71], v37, s[12:15], 0 offen offset:1024// 00000000475C: E05C1400 80834425
	buffer_load_dwordx4 a[72:75], v38, s[12:15], 0 offen       // 000000004764: E05C1000 80834826
	buffer_load_dwordx4 a[76:79], v38, s[12:15], 0 offen offset:1024// 00000000476C: E05C1400 80834C26
	v_mul_f32_e64 v46, -v136, s6                               // 000000004774: D105002E 20000D88
	v_mul_f32_e64 v47, -v137, s6                               // 00000000477C: D105002F 20000D89
	v_mul_f32_e64 v48, -v138, s6                               // 000000004784: D1050030 20000D8A
	v_mul_f32_e64 v49, -v139, s6                               // 00000000478C: D1050031 20000D8B
	v_exp_f32_e32 v46, v46                                     // 000000004794: 7E5C412E
	v_exp_f32_e32 v47, v47                                     // 000000004798: 7E5E412F
	v_exp_f32_e32 v48, v48                                     // 00000000479C: 7E604130
	v_exp_f32_e32 v49, v49                                     // 0000000047A0: 7E624131
	buffer_load_dwordx4 a[80:83], v39, s[12:15], 0 offen       // 0000000047A4: E05C1000 80835027
	buffer_load_dwordx4 a[84:87], v39, s[12:15], 0 offen offset:1024// 0000000047AC: E05C1400 80835427
	buffer_load_dwordx4 a[88:91], v40, s[12:15], 0 offen       // 0000000047B4: E05C1000 80835828
	buffer_load_dwordx4 a[92:95], v40, s[12:15], 0 offen offset:1024// 0000000047BC: E05C1400 80835C28
	s_add_u32 s12, s78, s12                                    // 0000000047C4: 800C0C4E
	s_addc_u32 s13, 0, s13                                     // 0000000047C8: 820D0D80
	v_add_f32_e64 v46, v46, 1.0                                // 0000000047CC: D101002E 0001E52E
	v_add_f32_e64 v47, v47, 1.0                                // 0000000047D4: D101002F 0001E52F
	v_add_f32_e64 v48, v48, 1.0                                // 0000000047DC: D1010030 0001E530
	v_add_f32_e64 v49, v49, 1.0                                // 0000000047E4: D1010031 0001E531
	v_rcp_f32_e32 v46, v46                                     // 0000000047EC: 7E5C452E
	v_rcp_f32_e32 v47, v47                                     // 0000000047F0: 7E5E452F
	v_rcp_f32_e32 v48, v48                                     // 0000000047F4: 7E604530
	v_rcp_f32_e32 v49, v49                                     // 0000000047F8: 7E624531
	v_mul_f32_e32 v136, v136, v46                              // 0000000047FC: 0B105D88
	v_mul_f32_e32 v137, v137, v47                              // 000000004800: 0B125F89
	v_mul_f32_e32 v138, v138, v48                              // 000000004804: 0B14618A
	v_mul_f32_e32 v139, v139, v49                              // 000000004808: 0B16638B
	v_mul_f32_e32 v136, v136, v72                              // 00000000480C: 0B109188
	v_mul_f32_e32 v137, v137, v73                              // 000000004810: 0B129389
	v_mul_f32_e32 v138, v138, v74                              // 000000004814: 0B14958A
	v_mul_f32_e32 v139, v139, v75                              // 000000004818: 0B16978B
	s_waitcnt vmcnt(12)                                        // 00000000481C: BF8C0F7C
	buffer_load_dwordx4 a[96:99], v37, s[12:15], 0 offen       // 000000004820: E05C1000 80836025
	buffer_load_dwordx4 a[100:103], v37, s[12:15], 0 offen offset:1024// 000000004828: E05C1400 80836425
	buffer_load_dwordx4 a[104:107], v38, s[12:15], 0 offen     // 000000004830: E05C1000 80836826
	buffer_load_dwordx4 a[108:111], v38, s[12:15], 0 offen offset:1024// 000000004838: E05C1400 80836C26
	v_mul_f32_e64 v46, -v140, s6                               // 000000004840: D105002E 20000D8C
	v_mul_f32_e64 v47, -v141, s6                               // 000000004848: D105002F 20000D8D
	v_mul_f32_e64 v48, -v142, s6                               // 000000004850: D1050030 20000D8E
	v_mul_f32_e64 v49, -v143, s6                               // 000000004858: D1050031 20000D8F
	v_exp_f32_e32 v46, v46                                     // 000000004860: 7E5C412E
	v_exp_f32_e32 v47, v47                                     // 000000004864: 7E5E412F
	v_exp_f32_e32 v48, v48                                     // 000000004868: 7E604130
	v_exp_f32_e32 v49, v49                                     // 00000000486C: 7E624131
	buffer_load_dwordx4 a[112:115], v39, s[12:15], 0 offen     // 000000004870: E05C1000 80837027
	buffer_load_dwordx4 a[116:119], v39, s[12:15], 0 offen offset:1024// 000000004878: E05C1400 80837427
	buffer_load_dwordx4 a[120:123], v40, s[12:15], 0 offen     // 000000004880: E05C1000 80837828
	buffer_load_dwordx4 a[124:127], v40, s[12:15], 0 offen offset:1024// 000000004888: E05C1400 80837C28
	s_add_u32 s12, s56, s12                                    // 000000004890: 800C0C38
	s_addc_u32 s13, 0, s13                                     // 000000004894: 820D0D80
	v_add_f32_e64 v46, v46, 1.0                                // 000000004898: D101002E 0001E52E
	v_add_f32_e64 v47, v47, 1.0                                // 0000000048A0: D101002F 0001E52F
	v_add_f32_e64 v48, v48, 1.0                                // 0000000048A8: D1010030 0001E530
	v_add_f32_e64 v49, v49, 1.0                                // 0000000048B0: D1010031 0001E531
	v_rcp_f32_e32 v46, v46                                     // 0000000048B8: 7E5C452E
	v_rcp_f32_e32 v47, v47                                     // 0000000048BC: 7E5E452F
	v_rcp_f32_e32 v48, v48                                     // 0000000048C0: 7E604530
	v_rcp_f32_e32 v49, v49                                     // 0000000048C4: 7E624531
	v_mul_f32_e32 v140, v140, v46                              // 0000000048C8: 0B185D8C
	v_mul_f32_e32 v141, v141, v47                              // 0000000048CC: 0B1A5F8D
	v_mul_f32_e32 v142, v142, v48                              // 0000000048D0: 0B1C618E
	v_mul_f32_e32 v143, v143, v49                              // 0000000048D4: 0B1E638F
	v_mul_f32_e32 v140, v140, v76                              // 0000000048D8: 0B18998C
	v_mul_f32_e32 v141, v141, v77                              // 0000000048DC: 0B1A9B8D
	v_mul_f32_e32 v142, v142, v78                              // 0000000048E0: 0B1C9D8E
	v_mul_f32_e32 v143, v143, v79                              // 0000000048E4: 0B1E9F8F
	v_lshlrev_b32_e32 v46, 2, v0                               // 0000000048E8: 245C0082
	s_mul_i32 s60, s82, s71                                    // 0000000048EC: 923C4752
	v_add_u32_e64 v80, v46, s60                                // 0000000048F0: D1340050 0000792E
	v_mov_b32_e32 v81, 0                                       // 0000000048F8: 7EA20280
	s_mul_i32 s60, s83, s71                                    // 0000000048FC: 923C4753
	v_add_u32_e64 v82, v46, s60                                // 000000004900: D1340052 0000792E
	v_mov_b32_e32 v83, 0                                       // 000000004908: 7EA60280
	s_mul_i32 s60, s84, s71                                    // 00000000490C: 923C4754
	v_add_u32_e64 v84, v46, s60                                // 000000004910: D1340054 0000792E
	v_mov_b32_e32 v85, 0                                       // 000000004918: 7EAA0280
	s_mul_i32 s60, s85, s71                                    // 00000000491C: 923C4755
	v_add_u32_e64 v86, v46, s60                                // 000000004920: D1340056 0000792E
	v_mov_b32_e32 v87, 0                                       // 000000004928: 7EAE0280
	v_mov_b32_e32 v26, 0x358637bd                              // 00000000492C: 7E3402FF 358637BD
	v_max3_f32 v26, |v128|, |v129|, v26                        // 000000004934: D1D3031A 046B0380
	v_max3_f32 v26, |v130|, |v131|, v26                        // 00000000493C: D1D3031A 046B0782
	v_max3_f32 v26, |v132|, |v133|, v26                        // 000000004944: D1D3031A 046B0B84
	v_max3_f32 v26, |v134|, |v135|, v26                        // 00000000494C: D1D3031A 046B0F86
	v_mov_b32_e32 v46, v26                                     // 000000004954: 7E5C031A
	s_nop 1                                                    // 000000004958: BF800001
	v_permlane32_swap_b32_e32 v46, v26                         // 00000000495C: 7E5CB51A
	v_max_f32_e32 v26, v46, v26                                // 000000004960: 1634352E
	v_mov_b32_e32 v46, v26                                     // 000000004964: 7E5C031A
	s_nop 1                                                    // 000000004968: BF800001
	v_permlane16_swap_b32_e32 v46, v26                         // 00000000496C: 7E5CB31A
	v_max_f32_e32 v26, v46, v26                                // 000000004970: 1634352E
	v_lshlrev_b32_e32 v46, 2, v0                               // 000000004974: 245C0082
	s_mul_i32 s60, 64, s7                                      // 000000004978: 923C07C0
	v_add_u32_e32 v46, s60, v46                                // 00000000497C: 685C5C3C
	s_mov_b32 s60, 0xffff                                      // 000000004980: BEBC00FF 0000FFFF
	s_mov_b32 s61, 0                                           // 000000004988: BEBD0080
	s_mov_b64 exec, s[60:61]                                   // 00000000498C: BEFE013C
	ds_write_b32 v46, v26 offset:10752                         // 000000004990: D81A2A00 00001A2E
	s_mov_b32 s60, -1                                          // 000000004998: BEBC00C1
	s_mov_b32 s61, -1                                          // 00000000499C: BEBD00C1
	s_mov_b64 exec, s[60:61]                                   // 0000000049A0: BEFE013C
	s_waitcnt lgkmcnt(0)                                       // 0000000049A4: BF8CC07F
	s_barrier                                                  // 0000000049A8: BF8A0000
	v_lshlrev_b32_e32 v46, 2, v0                               // 0000000049AC: 245C0082
	ds_read_b32 v144, v46 offset:10752                         // 0000000049B0: D86C2A00 9000002E
	s_waitcnt lgkmcnt(0)                                       // 0000000049B8: BF8CC07F
	v_mov_b32_e32 v46, v144                                    // 0000000049BC: 7E5C0390
	s_nop 1                                                    // 0000000049C0: BF800001
	v_permlane32_swap_b32_e32 v46, v144                        // 0000000049C4: 7E5CB590
	v_max_f32_e32 v144, v46, v144                              // 0000000049C8: 1721212E
	v_mov_b32_e32 v46, v144                                    // 0000000049CC: 7E5C0390
	s_nop 1                                                    // 0000000049D0: BF800001
	v_permlane16_swap_b32_e32 v46, v144                        // 0000000049D4: 7E5CB390
	v_max_f32_e32 v144, v46, v144                              // 0000000049D8: 1721212E
	v_max_f32_e32 v26, v144, v26                               // 0000000049DC: 16343590
	v_rcp_f32_e32 v26, v26                                     // 0000000049E0: 7E34451A
	v_mov_b32_e32 v46, 0x43e00000                              // 0000000049E4: 7E5C02FF 43E00000
	v_mul_f32_e32 v26, v46, v26                                // 0000000049EC: 0A34352E
	v_mul_f32_e32 v128, v26, v128                              // 0000000049F0: 0B01011A
	v_mul_f32_e32 v129, v26, v129                              // 0000000049F4: 0B03031A
	v_mul_f32_e32 v130, v26, v130                              // 0000000049F8: 0B05051A
	v_mul_f32_e32 v131, v26, v131                              // 0000000049FC: 0B07071A
	v_cvt_pk_fp8_f32 v128, v128, v129                          // 000000004A00: D2A20080 00030380
	v_cvt_pk_fp8_f32 v128, v130, v131 op_sel:[0,0,1]           // 000000004A08: D2A24080 00030782
	v_mul_f32_e32 v132, v26, v132                              // 000000004A10: 0B09091A
	v_mul_f32_e32 v133, v26, v133                              // 000000004A14: 0B0B0B1A
	v_mul_f32_e32 v134, v26, v134                              // 000000004A18: 0B0D0D1A
	v_mul_f32_e32 v135, v26, v135                              // 000000004A1C: 0B0F0F1A
	v_cvt_pk_fp8_f32 v129, v132, v133                          // 000000004A20: D2A20081 00030B84
	v_cvt_pk_fp8_f32 v129, v134, v135 op_sel:[0,0,1]           // 000000004A28: D2A24081 00030F86
	v_rcp_f32_e32 v28, v26                                     // 000000004A30: 7E38451A
	v_nop                                                      // 000000004A34: 7E000000
	v_mov_b32_e32 v26, 0x358637bd                              // 000000004A38: 7E3402FF 358637BD
	v_max3_f32 v26, |v136|, |v137|, v26                        // 000000004A40: D1D3031A 046B1388
	v_max3_f32 v26, |v138|, |v139|, v26                        // 000000004A48: D1D3031A 046B178A
	v_max3_f32 v26, |v140|, |v141|, v26                        // 000000004A50: D1D3031A 046B1B8C
	v_max3_f32 v26, |v142|, |v143|, v26                        // 000000004A58: D1D3031A 046B1F8E
	v_mov_b32_e32 v46, v26                                     // 000000004A60: 7E5C031A
	s_nop 1                                                    // 000000004A64: BF800001
	v_permlane32_swap_b32_e32 v46, v26                         // 000000004A68: 7E5CB51A
	v_max_f32_e32 v26, v46, v26                                // 000000004A6C: 1634352E
	v_mov_b32_e32 v46, v26                                     // 000000004A70: 7E5C031A
	s_nop 1                                                    // 000000004A74: BF800001
	v_permlane16_swap_b32_e32 v46, v26                         // 000000004A78: 7E5CB31A
	v_max_f32_e32 v26, v46, v26                                // 000000004A7C: 1634352E
	v_lshlrev_b32_e32 v46, 2, v0                               // 000000004A80: 245C0082
	s_mul_i32 s60, 64, s7                                      // 000000004A84: 923C07C0
	v_add_u32_e32 v46, s60, v46                                // 000000004A88: 685C5C3C
	s_mov_b32 s60, 0xffff                                      // 000000004A8C: BEBC00FF 0000FFFF
	s_mov_b32 s61, 0                                           // 000000004A94: BEBD0080
	s_mov_b64 exec, s[60:61]                                   // 000000004A98: BEFE013C
	ds_write_b32 v46, v26 offset:10752                         // 000000004A9C: D81A2A00 00001A2E
	s_mov_b32 s60, -1                                          // 000000004AA4: BEBC00C1
	s_mov_b32 s61, -1                                          // 000000004AA8: BEBD00C1
	s_mov_b64 exec, s[60:61]                                   // 000000004AAC: BEFE013C
	s_waitcnt lgkmcnt(0)                                       // 000000004AB0: BF8CC07F
	s_barrier                                                  // 000000004AB4: BF8A0000
	v_lshlrev_b32_e32 v46, 2, v0                               // 000000004AB8: 245C0082
	ds_read_b32 v144, v46 offset:10752                         // 000000004ABC: D86C2A00 9000002E
	s_waitcnt lgkmcnt(0)                                       // 000000004AC4: BF8CC07F
	v_mov_b32_e32 v46, v144                                    // 000000004AC8: 7E5C0390
	s_nop 1                                                    // 000000004ACC: BF800001
	v_permlane32_swap_b32_e32 v46, v144                        // 000000004AD0: 7E5CB590
	v_max_f32_e32 v144, v46, v144                              // 000000004AD4: 1721212E
	v_mov_b32_e32 v46, v144                                    // 000000004AD8: 7E5C0390
	s_nop 1                                                    // 000000004ADC: BF800001
	v_permlane16_swap_b32_e32 v46, v144                        // 000000004AE0: 7E5CB390
	v_max_f32_e32 v144, v46, v144                              // 000000004AE4: 1721212E
	v_max_f32_e32 v26, v144, v26                               // 000000004AE8: 16343590
	v_rcp_f32_e32 v26, v26                                     // 000000004AEC: 7E34451A
	v_mov_b32_e32 v46, 0x43e00000                              // 000000004AF0: 7E5C02FF 43E00000
	v_mul_f32_e32 v26, v46, v26                                // 000000004AF8: 0A34352E
	v_mul_f32_e32 v136, v26, v136                              // 000000004AFC: 0B11111A
	v_mul_f32_e32 v137, v26, v137                              // 000000004B00: 0B13131A
	v_mul_f32_e32 v138, v26, v138                              // 000000004B04: 0B15151A
	v_mul_f32_e32 v139, v26, v139                              // 000000004B08: 0B17171A
	v_cvt_pk_fp8_f32 v130, v136, v137                          // 000000004B0C: D2A20082 00031388
	v_cvt_pk_fp8_f32 v130, v138, v139 op_sel:[0,0,1]           // 000000004B14: D2A24082 0003178A
	v_mul_f32_e32 v140, v26, v140                              // 000000004B1C: 0B19191A
	v_mul_f32_e32 v141, v26, v141                              // 000000004B20: 0B1B1B1A
	v_mul_f32_e32 v142, v26, v142                              // 000000004B24: 0B1D1D1A
	v_mul_f32_e32 v143, v26, v143                              // 000000004B28: 0B1F1F1A
	v_cvt_pk_fp8_f32 v131, v140, v141                          // 000000004B2C: D2A20083 00031B8C
	v_cvt_pk_fp8_f32 v131, v142, v143 op_sel:[0,0,1]           // 000000004B34: D2A24083 00031F8E
	v_rcp_f32_e32 v29, v26                                     // 000000004B3C: 7E3A451A
	v_nop                                                      // 000000004B40: 7E000000
	v_lshrrev_b32_e32 v46, 5, v0                               // 000000004B44: 205C0085
	v_lshlrev_b32_e32 v47, 6, v46                              // 000000004B48: 245E5C86
	v_and_b32_e32 v46, 31, v0                                  // 000000004B4C: 265C009F
	v_lshrrev_b32_e32 v48, 4, v46                              // 000000004B50: 20605C84
	v_add_u32_e32 v47, v48, v47                                // 000000004B54: 685E5F30
	v_and_b32_e32 v46, 15, v0                                  // 000000004B58: 265C008F
	v_lshlrev_b32_e32 v46, 1, v46                              // 000000004B5C: 245C5C81
	v_add_u32_e32 v47, v46, v47                                // 000000004B60: 685E5F2E
	v_lshlrev_b32_e32 v46, 2, v47                              // 000000004B64: 245C5E82
	s_mov_b32 s60, 0                                           // 000000004B68: BEBC0080
	s_lshr_b32 s61, s7, 1                                      // 000000004B6C: 8F3D8107
	s_mul_i32 s61, s61, 0x200                                  // 000000004B70: 923DFF3D 00000200
	s_add_u32 s60, s61, s60                                    // 000000004B78: 803C3C3D
	s_and_b32 s61, s7, 1                                       // 000000004B7C: 863D8107
	s_mul_i32 s61, s61, 0x80                                   // 000000004B80: 923DFF3D 00000080
	s_add_u32 s60, s61, s60                                    // 000000004B88: 803C3C3D
	v_add_u32_e64 v46, v46, s60                                // 000000004B8C: D134002E 0000792E
	ds_write_b32 v46, v128 offset:11776                        // 000000004B94: D81A2E00 0000802E
	ds_write_b32 v46, v129 offset:12800                        // 000000004B9C: D81A3200 0000812E
	ds_write_b32 v46, v130 offset:13824                        // 000000004BA4: D81A3600 0000822E
	ds_write_b32 v46, v131 offset:14848                        // 000000004BAC: D81A3A00 0000832E
	s_waitcnt lgkmcnt(0)                                       // 000000004BB4: BF8CC07F
	s_barrier                                                  // 000000004BB8: BF8A0000
	v_and_b32_e32 v46, 31, v0                                  // 000000004BBC: 265C009F
	v_lshrrev_b32_e32 v46, 4, v46                              // 000000004BC0: 205C5C84
	v_lshlrev_b32_e32 v47, 5, v46                              // 000000004BC4: 245E5C85
	v_lshrrev_b32_e32 v46, 5, v0                               // 000000004BC8: 205C0085
	v_lshlrev_b32_e32 v46, 7, v46                              // 000000004BCC: 245C5C87
	v_add_u32_e32 v47, v46, v47                                // 000000004BD0: 685E5F2E
	v_and_b32_e32 v46, 15, v0                                  // 000000004BD4: 265C008F
	v_lshlrev_b32_e32 v46, 1, v46                              // 000000004BD8: 245C5C81
	v_add_u32_e32 v47, v46, v47                                // 000000004BDC: 685E5F2E
	v_lshlrev_b32_e32 v46, 2, v47                              // 000000004BE0: 245C5E82
	ds_read_b64 v[128:129], v46 offset:11776                   // 000000004BE4: D8EC2E00 8000002E
	ds_read_b64 v[130:131], v46 offset:12032                   // 000000004BEC: D8EC2F00 8200002E
	ds_read_b64 v[132:133], v46 offset:12800                   // 000000004BF4: D8EC3200 8400002E
	ds_read_b64 v[134:135], v46 offset:13056                   // 000000004BFC: D8EC3300 8600002E
	ds_read_b64 v[136:137], v46 offset:13824                   // 000000004C04: D8EC3600 8800002E
	ds_read_b64 v[138:139], v46 offset:14080                   // 000000004C0C: D8EC3700 8A00002E
	ds_read_b64 v[140:141], v46 offset:14848                   // 000000004C14: D8EC3A00 8C00002E
	ds_read_b64 v[142:143], v46 offset:15104                   // 000000004C1C: D8EC3B00 8E00002E
	s_waitcnt lgkmcnt(0)                                       // 000000004C24: BF8CC07F
	s_barrier                                                  // 000000004C28: BF8A0000
	v_mov_b32_e32 v160, 0                                      // 000000004C2C: 7F400280
	v_mov_b32_e32 v176, 0                                      // 000000004C30: 7F600280
	v_mov_b32_e32 v161, 0                                      // 000000004C34: 7F420280
	v_mov_b32_e32 v177, 0                                      // 000000004C38: 7F620280
	v_mov_b32_e32 v162, 0                                      // 000000004C3C: 7F440280
	v_mov_b32_e32 v178, 0                                      // 000000004C40: 7F640280
	v_mov_b32_e32 v163, 0                                      // 000000004C44: 7F460280
	v_mov_b32_e32 v179, 0                                      // 000000004C48: 7F660280
	v_mov_b32_e32 v164, 0                                      // 000000004C4C: 7F480280
	v_mov_b32_e32 v180, 0                                      // 000000004C50: 7F680280
	v_mov_b32_e32 v165, 0                                      // 000000004C54: 7F4A0280
	v_mov_b32_e32 v181, 0                                      // 000000004C58: 7F6A0280
	v_mov_b32_e32 v166, 0                                      // 000000004C5C: 7F4C0280
	v_mov_b32_e32 v182, 0                                      // 000000004C60: 7F6C0280
	v_mov_b32_e32 v167, 0                                      // 000000004C64: 7F4E0280
	v_mov_b32_e32 v183, 0                                      // 000000004C68: 7F6E0280
	v_mov_b32_e32 v168, 0                                      // 000000004C6C: 7F500280
	v_mov_b32_e32 v184, 0                                      // 000000004C70: 7F700280
	v_mov_b32_e32 v169, 0                                      // 000000004C74: 7F520280
	v_mov_b32_e32 v185, 0                                      // 000000004C78: 7F720280
	v_mov_b32_e32 v170, 0                                      // 000000004C7C: 7F540280
	v_mov_b32_e32 v186, 0                                      // 000000004C80: 7F740280
	v_mov_b32_e32 v171, 0                                      // 000000004C84: 7F560280
	v_mov_b32_e32 v187, 0                                      // 000000004C88: 7F760280
	v_mov_b32_e32 v172, 0                                      // 000000004C8C: 7F580280
	v_mov_b32_e32 v188, 0                                      // 000000004C90: 7F780280
	v_mov_b32_e32 v173, 0                                      // 000000004C94: 7F5A0280
	v_mov_b32_e32 v189, 0                                      // 000000004C98: 7F7A0280
	v_mov_b32_e32 v174, 0                                      // 000000004C9C: 7F5C0280
	v_mov_b32_e32 v190, 0                                      // 000000004CA0: 7F7C0280
	v_mov_b32_e32 v175, 0                                      // 000000004CA4: 7F5E0280
	v_mov_b32_e32 v191, 0                                      // 000000004CA8: 7F7E0280
	ds_write_b64 v4, v[160:161] offset:11776                   // 000000004CAC: D89A2E00 0000A004
	ds_write_b64 v4, v[162:163] offset:13952                   // 000000004CB4: D89A3680 0000A204
	ds_write_b64 v4, v[164:165] offset:16128                   // 000000004CBC: D89A3F00 0000A404
	ds_write_b64 v4, v[166:167] offset:18304                   // 000000004CC4: D89A4780 0000A604
	s_mov_b32 s80, 0                                           // 000000004CCC: BED00080

0000000000004cd0 <label_07B4>:
	s_waitcnt vmcnt(29) lgkmcnt(0)                             // 000000004CD0: BF8C407D
	s_barrier                                                  // 000000004CD4: BF8A0000
	v_mfma_f32_16x16x128_f8f6f4 v[160:163], a[0:7], v[128:135], 0// 000000004CD8: D3AD00A0 0A030100
	ds_read_b32 v64, v5 offset:11776                           // 000000004CE0: D86C2E00 40000005
	ds_read_b32 v65, v5 offset:16128                           // 000000004CE8: D86C3F00 41000005
	ds_read_b32 v66, v5 offset:11784                           // 000000004CF0: D86C2E08 42000005
	ds_read_b32 v67, v5 offset:16136                           // 000000004CF8: D86C3F08 43000005
	ds_read_b32 v68, v5 offset:11808                           // 000000004D00: D86C2E20 44000005
	ds_read_b32 v69, v5 offset:16160                           // 000000004D08: D86C3F20 45000005
	ds_read_b32 v70, v5 offset:11816                           // 000000004D10: D86C2E28 46000005
	ds_read_b32 v71, v5 offset:16168                           // 000000004D18: D86C3F28 47000005
	v_mfma_f32_16x16x128_f8f6f4 v[164:167], a[8:15], v[128:135], 0// 000000004D20: D3AD00A4 0A030108
	buffer_load_dword v21, v6, s[16:19], 0 offen               // 000000004D28: E0501000 80041506
	buffer_load_dwordx4 a[128:131], v37, s[12:15], 0 offen     // 000000004D30: E05C1000 80838025
	buffer_load_dwordx4 a[132:135], v37, s[12:15], 0 offen offset:1024// 000000004D38: E05C1400 80838425
	buffer_load_dwordx4 a[136:139], v38, s[12:15], 0 offen     // 000000004D40: E05C1000 80838826
	buffer_load_dwordx4 a[140:143], v38, s[12:15], 0 offen offset:1024// 000000004D48: E05C1400 80838C26
	s_waitcnt vmcnt(29)                                        // 000000004D50: BF8C4F7D
	v_mfma_f32_16x16x128_f8f6f4 v[168:171], a[16:23], v[128:135], 0// 000000004D54: D3AD00A8 0A030110
	v_mfma_f32_16x16x128_f8f6f4 v[172:175], a[24:31], v[128:135], 0// 000000004D5C: D3AD00AC 0A030118
	buffer_load_dwordx4 a[144:147], v39, s[12:15], 0 offen     // 000000004D64: E05C1000 80839027
	buffer_load_dwordx4 a[148:151], v39, s[12:15], 0 offen offset:1024// 000000004D6C: E05C1400 80839427
	buffer_load_dwordx4 a[152:155], v40, s[12:15], 0 offen     // 000000004D74: E05C1000 80839828
	buffer_load_dwordx4 a[156:159], v40, s[12:15], 0 offen offset:1024// 000000004D7C: E05C1400 80839C28
	s_add_u32 s12, s78, s12                                    // 000000004D84: 800C0C4E
	s_addc_u32 s13, 0, s13                                     // 000000004D88: 820D0D80
	v_mul_f32_dpp v46, v19, v28 row_newbcast:0 row_mask:0xf bank_mask:0xf// 000000004D8C: 0A5C38FA FF015013
	v_mov_b32_e32 v47, v46                                     // 000000004D94: 7E5E032E
	v_pk_mul_f32 v[160:161], v[46:47], v[160:161]              // 000000004D98: D3B140A0 1803412E
	v_pk_mul_f32 v[162:163], v[46:47], v[162:163]              // 000000004DA0: D3B140A2 1803452E
	v_pk_mul_f32 v[164:165], v[46:47], v[164:165]              // 000000004DA8: D3B140A4 1803492E
	v_pk_mul_f32 v[166:167], v[46:47], v[166:167]              // 000000004DB0: D3B140A6 18034D2E
	v_mul_f32_dpp v46, v19, v28 row_newbcast:1 row_mask:0xf bank_mask:0xf// 000000004DB8: 0A5C38FA FF015113
	v_mov_b32_e32 v47, v46                                     // 000000004DC0: 7E5E032E
	v_pk_mul_f32 v[168:169], v[46:47], v[168:169]              // 000000004DC4: D3B140A8 1803512E
	v_pk_mul_f32 v[170:171], v[46:47], v[170:171]              // 000000004DCC: D3B140AA 1803552E
	v_pk_mul_f32 v[172:173], v[46:47], v[172:173]              // 000000004DD4: D3B140AC 1803592E
	v_pk_mul_f32 v[174:175], v[46:47], v[174:175]              // 000000004DDC: D3B140AE 18035D2E
	s_waitcnt vmcnt(29)                                        // 000000004DE4: BF8C4F7D
	v_mfma_f32_16x16x128_f8f6f4 v[144:147], a[32:39], v[136:143], 0// 000000004DE8: D3AD0090 0A031120
	ds_write_b64 v4, v[176:177] offset:29184                   // 000000004DF0: D89A7200 0000B004
	ds_write_b64 v4, v[178:179] offset:31360                   // 000000004DF8: D89A7A80 0000B204
	ds_write_b64 v4, v[180:181] offset:33536                   // 000000004E00: D89A8300 0000B404
	ds_write_b64 v4, v[182:183] offset:35712                   // 000000004E08: D89A8B80 0000B604
	v_mfma_f32_16x16x128_f8f6f4 v[148:151], a[40:47], v[136:143], 0// 000000004E10: D3AD0094 0A031128
	buffer_load_dwordx4 a[160:163], v37, s[12:15], 0 offen     // 000000004E18: E05C1000 8083A025
	buffer_load_dwordx4 a[164:167], v37, s[12:15], 0 offen offset:1024// 000000004E20: E05C1400 8083A425
	buffer_load_dwordx4 a[168:171], v38, s[12:15], 0 offen     // 000000004E28: E05C1000 8083A826
	buffer_load_dwordx4 a[172:175], v38, s[12:15], 0 offen offset:1024// 000000004E30: E05C1400 8083AC26
	s_waitcnt vmcnt(29)                                        // 000000004E38: BF8C4F7D
	v_mfma_f32_16x16x128_f8f6f4 v[152:155], a[48:55], v[136:143], 0// 000000004E3C: D3AD0098 0A031130
	v_mfma_f32_16x16x128_f8f6f4 v[156:159], a[56:63], v[136:143], 0// 000000004E44: D3AD009C 0A031138
	buffer_load_dwordx4 a[176:179], v39, s[12:15], 0 offen     // 000000004E4C: E05C1000 8083B027
	buffer_load_dwordx4 a[180:183], v39, s[12:15], 0 offen offset:1024// 000000004E54: E05C1400 8083B427
	buffer_load_dwordx4 a[184:187], v40, s[12:15], 0 offen     // 000000004E5C: E05C1000 8083B828
	buffer_load_dwordx4 a[188:191], v40, s[12:15], 0 offen offset:1024// 000000004E64: E05C1400 8083BC28
	v_mul_f32_dpp v46, v19, v29 row_newbcast:2 row_mask:0xf bank_mask:0xf// 000000004E6C: 0A5C3AFA FF015213
	v_mov_b32_e32 v47, v46                                     // 000000004E74: 7E5E032E
	v_pk_fma_f32 v[160:161], v[144:145], v[46:47], v[160:161]  // 000000004E78: D3B040A0 1E825D90
	v_pk_fma_f32 v[162:163], v[146:147], v[46:47], v[162:163]  // 000000004E80: D3B040A2 1E8A5D92
	v_pk_fma_f32 v[164:165], v[148:149], v[46:47], v[164:165]  // 000000004E88: D3B040A4 1E925D94
	v_pk_fma_f32 v[166:167], v[150:151], v[46:47], v[166:167]  // 000000004E90: D3B040A6 1E9A5D96
	v_mul_f32_dpp v46, v19, v29 row_newbcast:3 row_mask:0xf bank_mask:0xf// 000000004E98: 0A5C3AFA FF015313
	v_mov_b32_e32 v47, v46                                     // 000000004EA0: 7E5E032E
	v_pk_fma_f32 v[168:169], v[152:153], v[46:47], v[168:169]  // 000000004EA4: D3B040A8 1EA25D98
	v_pk_fma_f32 v[170:171], v[154:155], v[46:47], v[170:171]  // 000000004EAC: D3B040AA 1EAA5D9A
	v_pk_fma_f32 v[172:173], v[156:157], v[46:47], v[172:173]  // 000000004EB4: D3B040AC 1EB25D9C
	v_pk_fma_f32 v[174:175], v[158:159], v[46:47], v[174:175]  // 000000004EBC: D3B040AE 1EBA5D9E
	s_add_u32 s60, 0x300, s80                                  // 000000004EC4: 803C50FF 00000300
	s_cmp_lt_u32 s60, s81                                      // 000000004ECC: BF0A513C
	s_cselect_b32 s56, s56, 0                                  // 000000004ED0: 85388038
	s_cselect_b32 s78, s78, 0                                  // 000000004ED4: 854E804E
	s_cselect_b32 s79, s79, 0                                  // 000000004ED8: 854F804F
	s_add_u32 s12, s56, s12                                    // 000000004EDC: 800C0C38
	s_addc_u32 s13, 0, s13                                     // 000000004EE0: 820D0D80
	s_add_u32 s16, s79, s16                                    // 000000004EE4: 8010104F
	s_addc_u32 s17, 0, s17                                     // 000000004EE8: 82111180
	v_mov_b32_e32 v46, v23                                     // 000000004EEC: 7E5C0317
	v_mov_b32_e32 v47, v23                                     // 000000004EF0: 7E5E0317
	v_pk_mul_f32 v[160:161], v[46:47], v[160:161]              // 000000004EF4: D3B140A0 1803412E
	v_pk_mul_f32 v[162:163], v[46:47], v[162:163]              // 000000004EFC: D3B140A2 1803452E
	v_pk_mul_f32 v[164:165], v[46:47], v[164:165]              // 000000004F04: D3B140A4 1803492E
	v_pk_mul_f32 v[166:167], v[46:47], v[166:167]              // 000000004F0C: D3B140A6 18034D2E
	v_pk_mul_f32 v[168:169], v[46:47], v[168:169]              // 000000004F14: D3B140A8 1803512E
	v_pk_mul_f32 v[170:171], v[46:47], v[170:171]              // 000000004F1C: D3B140AA 1803552E
	v_pk_mul_f32 v[172:173], v[46:47], v[172:173]              // 000000004F24: D3B140AC 1803592E
	v_pk_mul_f32 v[174:175], v[46:47], v[174:175]              // 000000004F2C: D3B140AE 18035D2E
	v_cvt_pk_bf16_f32 v160, v160, v161                         // 000000004F34: D26800A0 000343A0
	v_cvt_pk_bf16_f32 v161, v162, v163                         // 000000004F3C: D26800A1 000347A2
	v_cvt_pk_bf16_f32 v162, v164, v165                         // 000000004F44: D26800A2 00034BA4
	v_cvt_pk_bf16_f32 v163, v166, v167                         // 000000004F4C: D26800A3 00034FA6
	v_cvt_pk_bf16_f32 v164, v168, v169                         // 000000004F54: D26800A4 000353A8
	v_cvt_pk_bf16_f32 v165, v170, v171                         // 000000004F5C: D26800A5 000357AA
	v_cvt_pk_bf16_f32 v166, v172, v173                         // 000000004F64: D26800A6 00035BAC
	v_cvt_pk_bf16_f32 v167, v174, v175                         // 000000004F6C: D26800A7 00035FAE
	s_cmp_ge_u32 s80, 0x200                                    // 000000004F74: BF09FF50 00000200
	s_cselect_b32 s59, 0x200, s59                              // 000000004F7C: 853B3BFF 00000200
	s_waitcnt lgkmcnt(0)                                       // 000000004F84: BF8CC07F
	s_barrier                                                  // 000000004F88: BF8A0000
	s_setvskip s20, 0                                          // 000000004F8C: BF108014
	global_atomic_pk_add_bf16 v80, v64, s[8:9]                 // 000000004F90: DD488000 00084050
	s_setvskip 0, 0                                            // 000000004F98: BF108080
	s_setvskip s20, 0                                          // 000000004F9C: BF108014
	global_atomic_pk_add_bf16 v80, v65, s[8:9] offset:256      // 000000004FA0: DD488100 00084150
	s_setvskip 0, 0                                            // 000000004FA8: BF108080
	s_setvskip s20, 1                                          // 000000004FAC: BF108114
	global_atomic_pk_add_bf16 v82, v66, s[8:9]                 // 000000004FB0: DD488000 00084252
	s_setvskip 0, 0                                            // 000000004FB8: BF108080
	s_setvskip s20, 1                                          // 000000004FBC: BF108114
	global_atomic_pk_add_bf16 v82, v67, s[8:9] offset:256      // 000000004FC0: DD488100 00084352
	s_setvskip 0, 0                                            // 000000004FC8: BF108080
	s_setvskip s20, 2                                          // 000000004FCC: BF108214
	global_atomic_pk_add_bf16 v84, v68, s[8:9]                 // 000000004FD0: DD488000 00084454
	s_setvskip 0, 0                                            // 000000004FD8: BF108080
	s_setvskip s20, 2                                          // 000000004FDC: BF108214
	global_atomic_pk_add_bf16 v84, v69, s[8:9] offset:256      // 000000004FE0: DD488100 00084554
	s_setvskip 0, 0                                            // 000000004FE8: BF108080
	s_setvskip s20, 3                                          // 000000004FEC: BF108314
	global_atomic_pk_add_bf16 v86, v70, s[8:9]                 // 000000004FF0: DD488000 00084656
	s_setvskip 0, 0                                            // 000000004FF8: BF108080
	s_setvskip s20, 3                                          // 000000004FFC: BF108314
	global_atomic_pk_add_bf16 v86, v71, s[8:9] offset:256      // 000000005000: DD488100 00084756
	s_setvskip 0, 0                                            // 000000005008: BF108080
	s_add_u32 s8, s59, s8                                      // 00000000500C: 8008083B
	s_addc_u32 s9, 0, s9                                       // 000000005010: 82090980
	s_addk_i32 s80, 0x100                                      // 000000005014: B7500100
	s_cmp_lt_i32 s80, s81                                      // 000000005018: BF045150
	s_cbranch_scc0 label_0CAD                                  // 00000000501C: BF840425
	s_waitcnt vmcnt(29) lgkmcnt(0)                             // 000000005020: BF8C407D
	s_barrier                                                  // 000000005024: BF8A0000
	v_mfma_f32_16x16x128_f8f6f4 v[176:179], a[64:71], v[128:135], 0// 000000005028: D3AD00B0 0A030140
	ds_read_b32 v64, v5 offset:29184                           // 000000005030: D86C7200 40000005
	ds_read_b32 v65, v5 offset:33536                           // 000000005038: D86C8300 41000005
	ds_read_b32 v66, v5 offset:29192                           // 000000005040: D86C7208 42000005
	ds_read_b32 v67, v5 offset:33544                           // 000000005048: D86C8308 43000005
	ds_read_b32 v68, v5 offset:29216                           // 000000005050: D86C7220 44000005
	ds_read_b32 v69, v5 offset:33568                           // 000000005058: D86C8320 45000005
	ds_read_b32 v70, v5 offset:29224                           // 000000005060: D86C7228 46000005
	ds_read_b32 v71, v5 offset:33576                           // 000000005068: D86C8328 47000005
	v_mfma_f32_16x16x128_f8f6f4 v[180:183], a[72:79], v[128:135], 0// 000000005070: D3AD00B4 0A030148
	buffer_load_dword v19, v6, s[16:19], 0 offen               // 000000005078: E0501000 80041306
	buffer_load_dwordx4 a[0:3], v37, s[12:15], 0 offen         // 000000005080: E05C1000 80830025
	buffer_load_dwordx4 a[4:7], v37, s[12:15], 0 offen offset:1024// 000000005088: E05C1400 80830425
	buffer_load_dwordx4 a[8:11], v38, s[12:15], 0 offen        // 000000005090: E05C1000 80830826
	buffer_load_dwordx4 a[12:15], v38, s[12:15], 0 offen offset:1024// 000000005098: E05C1400 80830C26
	s_waitcnt vmcnt(29)                                        // 0000000050A0: BF8C4F7D
	v_mfma_f32_16x16x128_f8f6f4 v[184:187], a[80:87], v[128:135], 0// 0000000050A4: D3AD00B8 0A030150
	v_mfma_f32_16x16x128_f8f6f4 v[188:191], a[88:95], v[128:135], 0// 0000000050AC: D3AD00BC 0A030158
	buffer_load_dwordx4 a[16:19], v39, s[12:15], 0 offen       // 0000000050B4: E05C1000 80831027
	buffer_load_dwordx4 a[20:23], v39, s[12:15], 0 offen offset:1024// 0000000050BC: E05C1400 80831427
	buffer_load_dwordx4 a[24:27], v40, s[12:15], 0 offen       // 0000000050C4: E05C1000 80831828
	buffer_load_dwordx4 a[28:31], v40, s[12:15], 0 offen offset:1024// 0000000050CC: E05C1400 80831C28
	s_add_u32 s12, s78, s12                                    // 0000000050D4: 800C0C4E
	s_addc_u32 s13, 0, s13                                     // 0000000050D8: 820D0D80
	v_mul_f32_dpp v46, v20, v28 row_newbcast:0 row_mask:0xf bank_mask:0xf// 0000000050DC: 0A5C38FA FF015014
	v_mov_b32_e32 v47, v46                                     // 0000000050E4: 7E5E032E
	v_pk_mul_f32 v[176:177], v[46:47], v[176:177]              // 0000000050E8: D3B140B0 1803612E
	v_pk_mul_f32 v[178:179], v[46:47], v[178:179]              // 0000000050F0: D3B140B2 1803652E
	v_pk_mul_f32 v[180:181], v[46:47], v[180:181]              // 0000000050F8: D3B140B4 1803692E
	v_pk_mul_f32 v[182:183], v[46:47], v[182:183]              // 000000005100: D3B140B6 18036D2E
	v_mul_f32_dpp v46, v20, v28 row_newbcast:1 row_mask:0xf bank_mask:0xf// 000000005108: 0A5C38FA FF015114
	v_mov_b32_e32 v47, v46                                     // 000000005110: 7E5E032E
	v_pk_mul_f32 v[184:185], v[46:47], v[184:185]              // 000000005114: D3B140B8 1803712E
	v_pk_mul_f32 v[186:187], v[46:47], v[186:187]              // 00000000511C: D3B140BA 1803752E
	v_pk_mul_f32 v[188:189], v[46:47], v[188:189]              // 000000005124: D3B140BC 1803792E
	v_pk_mul_f32 v[190:191], v[46:47], v[190:191]              // 00000000512C: D3B140BE 18037D2E
	s_waitcnt vmcnt(29)                                        // 000000005134: BF8C4F7D
	v_mfma_f32_16x16x128_f8f6f4 v[144:147], a[96:103], v[136:143], 0// 000000005138: D3AD0090 0A031160
	ds_write_b64 v4, v[160:161] offset:11776                   // 000000005140: D89A2E00 0000A004
	ds_write_b64 v4, v[162:163] offset:13952                   // 000000005148: D89A3680 0000A204
	ds_write_b64 v4, v[164:165] offset:16128                   // 000000005150: D89A3F00 0000A404
	ds_write_b64 v4, v[166:167] offset:18304                   // 000000005158: D89A4780 0000A604
	v_mfma_f32_16x16x128_f8f6f4 v[148:151], a[104:111], v[136:143], 0// 000000005160: D3AD0094 0A031168
	buffer_load_dwordx4 a[32:35], v37, s[12:15], 0 offen       // 000000005168: E05C1000 80832025
	buffer_load_dwordx4 a[36:39], v37, s[12:15], 0 offen offset:1024// 000000005170: E05C1400 80832425
	buffer_load_dwordx4 a[40:43], v38, s[12:15], 0 offen       // 000000005178: E05C1000 80832826
	buffer_load_dwordx4 a[44:47], v38, s[12:15], 0 offen offset:1024// 000000005180: E05C1400 80832C26
	s_waitcnt vmcnt(29)                                        // 000000005188: BF8C4F7D
	v_mfma_f32_16x16x128_f8f6f4 v[152:155], a[112:119], v[136:143], 0// 00000000518C: D3AD0098 0A031170
	v_mfma_f32_16x16x128_f8f6f4 v[156:159], a[120:127], v[136:143], 0// 000000005194: D3AD009C 0A031178
	buffer_load_dwordx4 a[48:51], v39, s[12:15], 0 offen       // 00000000519C: E05C1000 80833027
	buffer_load_dwordx4 a[52:55], v39, s[12:15], 0 offen offset:1024// 0000000051A4: E05C1400 80833427
	buffer_load_dwordx4 a[56:59], v40, s[12:15], 0 offen       // 0000000051AC: E05C1000 80833828
	buffer_load_dwordx4 a[60:63], v40, s[12:15], 0 offen offset:1024// 0000000051B4: E05C1400 80833C28
	v_mul_f32_dpp v46, v20, v29 row_newbcast:2 row_mask:0xf bank_mask:0xf// 0000000051BC: 0A5C3AFA FF015214
	v_mov_b32_e32 v47, v46                                     // 0000000051C4: 7E5E032E
	v_pk_fma_f32 v[176:177], v[144:145], v[46:47], v[176:177]  // 0000000051C8: D3B040B0 1EC25D90
	v_pk_fma_f32 v[178:179], v[146:147], v[46:47], v[178:179]  // 0000000051D0: D3B040B2 1ECA5D92
	v_pk_fma_f32 v[180:181], v[148:149], v[46:47], v[180:181]  // 0000000051D8: D3B040B4 1ED25D94
	v_pk_fma_f32 v[182:183], v[150:151], v[46:47], v[182:183]  // 0000000051E0: D3B040B6 1EDA5D96
	v_mul_f32_dpp v46, v20, v29 row_newbcast:3 row_mask:0xf bank_mask:0xf// 0000000051E8: 0A5C3AFA FF015314
	v_mov_b32_e32 v47, v46                                     // 0000000051F0: 7E5E032E
	v_pk_fma_f32 v[184:185], v[152:153], v[46:47], v[184:185]  // 0000000051F4: D3B040B8 1EE25D98
	v_pk_fma_f32 v[186:187], v[154:155], v[46:47], v[186:187]  // 0000000051FC: D3B040BA 1EEA5D9A
	v_pk_fma_f32 v[188:189], v[156:157], v[46:47], v[188:189]  // 000000005204: D3B040BC 1EF25D9C
	v_pk_fma_f32 v[190:191], v[158:159], v[46:47], v[190:191]  // 00000000520C: D3B040BE 1EFA5D9E
	s_add_u32 s60, 0x300, s80                                  // 000000005214: 803C50FF 00000300
	s_cmp_lt_u32 s60, s81                                      // 00000000521C: BF0A513C
	s_cselect_b32 s56, s56, 0                                  // 000000005220: 85388038
	s_cselect_b32 s78, s78, 0                                  // 000000005224: 854E804E
	s_cselect_b32 s79, s79, 0                                  // 000000005228: 854F804F
	s_add_u32 s12, s56, s12                                    // 00000000522C: 800C0C38
	s_addc_u32 s13, 0, s13                                     // 000000005230: 820D0D80
	s_add_u32 s16, s79, s16                                    // 000000005234: 8010104F
	s_addc_u32 s17, 0, s17                                     // 000000005238: 82111180
	v_mov_b32_e32 v46, v23                                     // 00000000523C: 7E5C0317
	v_mov_b32_e32 v47, v23                                     // 000000005240: 7E5E0317
	v_pk_mul_f32 v[176:177], v[46:47], v[176:177]              // 000000005244: D3B140B0 1803612E
	v_pk_mul_f32 v[178:179], v[46:47], v[178:179]              // 00000000524C: D3B140B2 1803652E
	v_pk_mul_f32 v[180:181], v[46:47], v[180:181]              // 000000005254: D3B140B4 1803692E
	v_pk_mul_f32 v[182:183], v[46:47], v[182:183]              // 00000000525C: D3B140B6 18036D2E
	v_pk_mul_f32 v[184:185], v[46:47], v[184:185]              // 000000005264: D3B140B8 1803712E
	v_pk_mul_f32 v[186:187], v[46:47], v[186:187]              // 00000000526C: D3B140BA 1803752E
	v_pk_mul_f32 v[188:189], v[46:47], v[188:189]              // 000000005274: D3B140BC 1803792E
	v_pk_mul_f32 v[190:191], v[46:47], v[190:191]              // 00000000527C: D3B140BE 18037D2E
	v_cvt_pk_bf16_f32 v176, v176, v177                         // 000000005284: D26800B0 000363B0
	v_cvt_pk_bf16_f32 v177, v178, v179                         // 00000000528C: D26800B1 000367B2
	v_cvt_pk_bf16_f32 v178, v180, v181                         // 000000005294: D26800B2 00036BB4
	v_cvt_pk_bf16_f32 v179, v182, v183                         // 00000000529C: D26800B3 00036FB6
	v_cvt_pk_bf16_f32 v180, v184, v185                         // 0000000052A4: D26800B4 000373B8
	v_cvt_pk_bf16_f32 v181, v186, v187                         // 0000000052AC: D26800B5 000377BA
	v_cvt_pk_bf16_f32 v182, v188, v189                         // 0000000052B4: D26800B6 00037BBC
	v_cvt_pk_bf16_f32 v183, v190, v191                         // 0000000052BC: D26800B7 00037FBE
	s_cmp_ge_u32 s80, 0x200                                    // 0000000052C4: BF09FF50 00000200
	s_cselect_b32 s59, 0x200, s59                              // 0000000052CC: 853B3BFF 00000200
	s_waitcnt lgkmcnt(0)                                       // 0000000052D4: BF8CC07F
	s_barrier                                                  // 0000000052D8: BF8A0000
	s_setvskip s20, 0                                          // 0000000052DC: BF108014
	global_atomic_pk_add_bf16 v80, v64, s[8:9]                 // 0000000052E0: DD488000 00084050
	s_setvskip 0, 0                                            // 0000000052E8: BF108080
	s_setvskip s20, 0                                          // 0000000052EC: BF108014
	global_atomic_pk_add_bf16 v80, v65, s[8:9] offset:256      // 0000000052F0: DD488100 00084150
	s_setvskip 0, 0                                            // 0000000052F8: BF108080
	s_setvskip s20, 1                                          // 0000000052FC: BF108114
	global_atomic_pk_add_bf16 v82, v66, s[8:9]                 // 000000005300: DD488000 00084252
	s_setvskip 0, 0                                            // 000000005308: BF108080
	s_setvskip s20, 1                                          // 00000000530C: BF108114
	global_atomic_pk_add_bf16 v82, v67, s[8:9] offset:256      // 000000005310: DD488100 00084352
	s_setvskip 0, 0                                            // 000000005318: BF108080
	s_setvskip s20, 2                                          // 00000000531C: BF108214
	global_atomic_pk_add_bf16 v84, v68, s[8:9]                 // 000000005320: DD488000 00084454
	s_setvskip 0, 0                                            // 000000005328: BF108080
	s_setvskip s20, 2                                          // 00000000532C: BF108214
	global_atomic_pk_add_bf16 v84, v69, s[8:9] offset:256      // 000000005330: DD488100 00084554
	s_setvskip 0, 0                                            // 000000005338: BF108080
	s_setvskip s20, 3                                          // 00000000533C: BF108314
	global_atomic_pk_add_bf16 v86, v70, s[8:9]                 // 000000005340: DD488000 00084656
	s_setvskip 0, 0                                            // 000000005348: BF108080
	s_setvskip s20, 3                                          // 00000000534C: BF108314
	global_atomic_pk_add_bf16 v86, v71, s[8:9] offset:256      // 000000005350: DD488100 00084756
	s_setvskip 0, 0                                            // 000000005358: BF108080
	s_add_u32 s8, s59, s8                                      // 00000000535C: 8008083B
	s_addc_u32 s9, 0, s9                                       // 000000005360: 82090980
	s_addk_i32 s80, 0x100                                      // 000000005364: B7500100
	s_cmp_lt_i32 s80, s81                                      // 000000005368: BF045150
	s_cbranch_scc0 label_0CAD                                  // 00000000536C: BF840351
	s_waitcnt vmcnt(29) lgkmcnt(0)                             // 000000005370: BF8C407D
	s_barrier                                                  // 000000005374: BF8A0000
	v_mfma_f32_16x16x128_f8f6f4 v[160:163], a[128:135], v[128:135], 0// 000000005378: D3AD00A0 0A030180
	ds_read_b32 v64, v5 offset:11776                           // 000000005380: D86C2E00 40000005
	ds_read_b32 v65, v5 offset:16128                           // 000000005388: D86C3F00 41000005
	ds_read_b32 v66, v5 offset:11784                           // 000000005390: D86C2E08 42000005
	ds_read_b32 v67, v5 offset:16136                           // 000000005398: D86C3F08 43000005
	ds_read_b32 v68, v5 offset:11808                           // 0000000053A0: D86C2E20 44000005
	ds_read_b32 v69, v5 offset:16160                           // 0000000053A8: D86C3F20 45000005
	ds_read_b32 v70, v5 offset:11816                           // 0000000053B0: D86C2E28 46000005
	ds_read_b32 v71, v5 offset:16168                           // 0000000053B8: D86C3F28 47000005
	v_mfma_f32_16x16x128_f8f6f4 v[164:167], a[136:143], v[128:135], 0// 0000000053C0: D3AD00A4 0A030188
	buffer_load_dword v20, v6, s[16:19], 0 offen               // 0000000053C8: E0501000 80041406
	buffer_load_dwordx4 a[64:67], v37, s[12:15], 0 offen       // 0000000053D0: E05C1000 80834025
	buffer_load_dwordx4 a[68:71], v37, s[12:15], 0 offen offset:1024// 0000000053D8: E05C1400 80834425
	buffer_load_dwordx4 a[72:75], v38, s[12:15], 0 offen       // 0000000053E0: E05C1000 80834826
	buffer_load_dwordx4 a[76:79], v38, s[12:15], 0 offen offset:1024// 0000000053E8: E05C1400 80834C26
	s_waitcnt vmcnt(29)                                        // 0000000053F0: BF8C4F7D
	v_mfma_f32_16x16x128_f8f6f4 v[168:171], a[144:151], v[128:135], 0// 0000000053F4: D3AD00A8 0A030190
	v_mfma_f32_16x16x128_f8f6f4 v[172:175], a[152:159], v[128:135], 0// 0000000053FC: D3AD00AC 0A030198
	buffer_load_dwordx4 a[80:83], v39, s[12:15], 0 offen       // 000000005404: E05C1000 80835027
	buffer_load_dwordx4 a[84:87], v39, s[12:15], 0 offen offset:1024// 00000000540C: E05C1400 80835427
	buffer_load_dwordx4 a[88:91], v40, s[12:15], 0 offen       // 000000005414: E05C1000 80835828
	buffer_load_dwordx4 a[92:95], v40, s[12:15], 0 offen offset:1024// 00000000541C: E05C1400 80835C28
	s_add_u32 s12, s78, s12                                    // 000000005424: 800C0C4E
	s_addc_u32 s13, 0, s13                                     // 000000005428: 820D0D80
	v_mul_f32_dpp v46, v21, v28 row_newbcast:0 row_mask:0xf bank_mask:0xf// 00000000542C: 0A5C38FA FF015015
	v_mov_b32_e32 v47, v46                                     // 000000005434: 7E5E032E
	v_pk_mul_f32 v[160:161], v[46:47], v[160:161]              // 000000005438: D3B140A0 1803412E
	v_pk_mul_f32 v[162:163], v[46:47], v[162:163]              // 000000005440: D3B140A2 1803452E
	v_pk_mul_f32 v[164:165], v[46:47], v[164:165]              // 000000005448: D3B140A4 1803492E
	v_pk_mul_f32 v[166:167], v[46:47], v[166:167]              // 000000005450: D3B140A6 18034D2E
	v_mul_f32_dpp v46, v21, v28 row_newbcast:1 row_mask:0xf bank_mask:0xf// 000000005458: 0A5C38FA FF015115
	v_mov_b32_e32 v47, v46                                     // 000000005460: 7E5E032E
	v_pk_mul_f32 v[168:169], v[46:47], v[168:169]              // 000000005464: D3B140A8 1803512E
	v_pk_mul_f32 v[170:171], v[46:47], v[170:171]              // 00000000546C: D3B140AA 1803552E
	v_pk_mul_f32 v[172:173], v[46:47], v[172:173]              // 000000005474: D3B140AC 1803592E
	v_pk_mul_f32 v[174:175], v[46:47], v[174:175]              // 00000000547C: D3B140AE 18035D2E
	s_waitcnt vmcnt(29)                                        // 000000005484: BF8C4F7D
	v_mfma_f32_16x16x128_f8f6f4 v[144:147], a[160:167], v[136:143], 0// 000000005488: D3AD0090 0A0311A0
	ds_write_b64 v4, v[176:177] offset:29184                   // 000000005490: D89A7200 0000B004
	ds_write_b64 v4, v[178:179] offset:31360                   // 000000005498: D89A7A80 0000B204
	ds_write_b64 v4, v[180:181] offset:33536                   // 0000000054A0: D89A8300 0000B404
	ds_write_b64 v4, v[182:183] offset:35712                   // 0000000054A8: D89A8B80 0000B604
	v_mfma_f32_16x16x128_f8f6f4 v[148:151], a[168:175], v[136:143], 0// 0000000054B0: D3AD0094 0A0311A8
	buffer_load_dwordx4 a[96:99], v37, s[12:15], 0 offen       // 0000000054B8: E05C1000 80836025
	buffer_load_dwordx4 a[100:103], v37, s[12:15], 0 offen offset:1024// 0000000054C0: E05C1400 80836425
	buffer_load_dwordx4 a[104:107], v38, s[12:15], 0 offen     // 0000000054C8: E05C1000 80836826
	buffer_load_dwordx4 a[108:111], v38, s[12:15], 0 offen offset:1024// 0000000054D0: E05C1400 80836C26
	s_waitcnt vmcnt(29)                                        // 0000000054D8: BF8C4F7D
	v_mfma_f32_16x16x128_f8f6f4 v[152:155], a[176:183], v[136:143], 0// 0000000054DC: D3AD0098 0A0311B0
	v_mfma_f32_16x16x128_f8f6f4 v[156:159], a[184:191], v[136:143], 0// 0000000054E4: D3AD009C 0A0311B8
	buffer_load_dwordx4 a[112:115], v39, s[12:15], 0 offen     // 0000000054EC: E05C1000 80837027
	buffer_load_dwordx4 a[116:119], v39, s[12:15], 0 offen offset:1024// 0000000054F4: E05C1400 80837427
	buffer_load_dwordx4 a[120:123], v40, s[12:15], 0 offen     // 0000000054FC: E05C1000 80837828
	buffer_load_dwordx4 a[124:127], v40, s[12:15], 0 offen offset:1024// 000000005504: E05C1400 80837C28
	v_mul_f32_dpp v46, v21, v29 row_newbcast:2 row_mask:0xf bank_mask:0xf// 00000000550C: 0A5C3AFA FF015215
	v_mov_b32_e32 v47, v46                                     // 000000005514: 7E5E032E
	v_pk_fma_f32 v[160:161], v[144:145], v[46:47], v[160:161]  // 000000005518: D3B040A0 1E825D90
	v_pk_fma_f32 v[162:163], v[146:147], v[46:47], v[162:163]  // 000000005520: D3B040A2 1E8A5D92
	v_pk_fma_f32 v[164:165], v[148:149], v[46:47], v[164:165]  // 000000005528: D3B040A4 1E925D94
	v_pk_fma_f32 v[166:167], v[150:151], v[46:47], v[166:167]  // 000000005530: D3B040A6 1E9A5D96
	v_mul_f32_dpp v46, v21, v29 row_newbcast:3 row_mask:0xf bank_mask:0xf// 000000005538: 0A5C3AFA FF015315
	v_mov_b32_e32 v47, v46                                     // 000000005540: 7E5E032E
	v_pk_fma_f32 v[168:169], v[152:153], v[46:47], v[168:169]  // 000000005544: D3B040A8 1EA25D98
	v_pk_fma_f32 v[170:171], v[154:155], v[46:47], v[170:171]  // 00000000554C: D3B040AA 1EAA5D9A
	v_pk_fma_f32 v[172:173], v[156:157], v[46:47], v[172:173]  // 000000005554: D3B040AC 1EB25D9C
	v_pk_fma_f32 v[174:175], v[158:159], v[46:47], v[174:175]  // 00000000555C: D3B040AE 1EBA5D9E
	s_add_u32 s60, 0x300, s80                                  // 000000005564: 803C50FF 00000300
	s_cmp_lt_u32 s60, s81                                      // 00000000556C: BF0A513C
	s_cselect_b32 s56, s56, 0                                  // 000000005570: 85388038
	s_cselect_b32 s78, s78, 0                                  // 000000005574: 854E804E
	s_cselect_b32 s79, s79, 0                                  // 000000005578: 854F804F
	s_add_u32 s12, s56, s12                                    // 00000000557C: 800C0C38
	s_addc_u32 s13, 0, s13                                     // 000000005580: 820D0D80
	s_add_u32 s16, s79, s16                                    // 000000005584: 8010104F
	s_addc_u32 s17, 0, s17                                     // 000000005588: 82111180
	v_mov_b32_e32 v46, v23                                     // 00000000558C: 7E5C0317
	v_mov_b32_e32 v47, v23                                     // 000000005590: 7E5E0317
	v_pk_mul_f32 v[160:161], v[46:47], v[160:161]              // 000000005594: D3B140A0 1803412E
	v_pk_mul_f32 v[162:163], v[46:47], v[162:163]              // 00000000559C: D3B140A2 1803452E
	v_pk_mul_f32 v[164:165], v[46:47], v[164:165]              // 0000000055A4: D3B140A4 1803492E
	v_pk_mul_f32 v[166:167], v[46:47], v[166:167]              // 0000000055AC: D3B140A6 18034D2E
	v_pk_mul_f32 v[168:169], v[46:47], v[168:169]              // 0000000055B4: D3B140A8 1803512E
	v_pk_mul_f32 v[170:171], v[46:47], v[170:171]              // 0000000055BC: D3B140AA 1803552E
	v_pk_mul_f32 v[172:173], v[46:47], v[172:173]              // 0000000055C4: D3B140AC 1803592E
	v_pk_mul_f32 v[174:175], v[46:47], v[174:175]              // 0000000055CC: D3B140AE 18035D2E
	v_cvt_pk_bf16_f32 v160, v160, v161                         // 0000000055D4: D26800A0 000343A0
	v_cvt_pk_bf16_f32 v161, v162, v163                         // 0000000055DC: D26800A1 000347A2
	v_cvt_pk_bf16_f32 v162, v164, v165                         // 0000000055E4: D26800A2 00034BA4
	v_cvt_pk_bf16_f32 v163, v166, v167                         // 0000000055EC: D26800A3 00034FA6
	v_cvt_pk_bf16_f32 v164, v168, v169                         // 0000000055F4: D26800A4 000353A8
	v_cvt_pk_bf16_f32 v165, v170, v171                         // 0000000055FC: D26800A5 000357AA
	v_cvt_pk_bf16_f32 v166, v172, v173                         // 000000005604: D26800A6 00035BAC
	v_cvt_pk_bf16_f32 v167, v174, v175                         // 00000000560C: D26800A7 00035FAE
	s_cmp_ge_u32 s80, 0x200                                    // 000000005614: BF09FF50 00000200
	s_cselect_b32 s59, 0x200, s59                              // 00000000561C: 853B3BFF 00000200
	s_waitcnt lgkmcnt(0)                                       // 000000005624: BF8CC07F
	s_barrier                                                  // 000000005628: BF8A0000
	s_setvskip s20, 0                                          // 00000000562C: BF108014
	global_atomic_pk_add_bf16 v80, v64, s[8:9]                 // 000000005630: DD488000 00084050
	s_setvskip 0, 0                                            // 000000005638: BF108080
	s_setvskip s20, 0                                          // 00000000563C: BF108014
	global_atomic_pk_add_bf16 v80, v65, s[8:9] offset:256      // 000000005640: DD488100 00084150
	s_setvskip 0, 0                                            // 000000005648: BF108080
	s_setvskip s20, 1                                          // 00000000564C: BF108114
	global_atomic_pk_add_bf16 v82, v66, s[8:9]                 // 000000005650: DD488000 00084252
	s_setvskip 0, 0                                            // 000000005658: BF108080
	s_setvskip s20, 1                                          // 00000000565C: BF108114
	global_atomic_pk_add_bf16 v82, v67, s[8:9] offset:256      // 000000005660: DD488100 00084352
	s_setvskip 0, 0                                            // 000000005668: BF108080
	s_setvskip s20, 2                                          // 00000000566C: BF108214
	global_atomic_pk_add_bf16 v84, v68, s[8:9]                 // 000000005670: DD488000 00084454
	s_setvskip 0, 0                                            // 000000005678: BF108080
	s_setvskip s20, 2                                          // 00000000567C: BF108214
	global_atomic_pk_add_bf16 v84, v69, s[8:9] offset:256      // 000000005680: DD488100 00084554
	s_setvskip 0, 0                                            // 000000005688: BF108080
	s_setvskip s20, 3                                          // 00000000568C: BF108314
	global_atomic_pk_add_bf16 v86, v70, s[8:9]                 // 000000005690: DD488000 00084656
	s_setvskip 0, 0                                            // 000000005698: BF108080
	s_setvskip s20, 3                                          // 00000000569C: BF108314
	global_atomic_pk_add_bf16 v86, v71, s[8:9] offset:256      // 0000000056A0: DD488100 00084756
	s_setvskip 0, 0                                            // 0000000056A8: BF108080
	s_add_u32 s8, s59, s8                                      // 0000000056AC: 8008083B
	s_addc_u32 s9, 0, s9                                       // 0000000056B0: 82090980
	s_addk_i32 s80, 0x100                                      // 0000000056B4: B7500100
	s_cmp_lt_i32 s80, s81                                      // 0000000056B8: BF045150
	s_cbranch_scc0 label_0CAD                                  // 0000000056BC: BF84027D
	s_waitcnt vmcnt(29) lgkmcnt(0)                             // 0000000056C0: BF8C407D
	s_barrier                                                  // 0000000056C4: BF8A0000
	v_mfma_f32_16x16x128_f8f6f4 v[176:179], a[0:7], v[128:135], 0// 0000000056C8: D3AD00B0 0A030100
	ds_read_b32 v64, v5 offset:29184                           // 0000000056D0: D86C7200 40000005
	ds_read_b32 v65, v5 offset:33536                           // 0000000056D8: D86C8300 41000005
	ds_read_b32 v66, v5 offset:29192                           // 0000000056E0: D86C7208 42000005
	ds_read_b32 v67, v5 offset:33544                           // 0000000056E8: D86C8308 43000005
	ds_read_b32 v68, v5 offset:29216                           // 0000000056F0: D86C7220 44000005
	ds_read_b32 v69, v5 offset:33568                           // 0000000056F8: D86C8320 45000005
	ds_read_b32 v70, v5 offset:29224                           // 000000005700: D86C7228 46000005
	ds_read_b32 v71, v5 offset:33576                           // 000000005708: D86C8328 47000005
	v_mfma_f32_16x16x128_f8f6f4 v[180:183], a[8:15], v[128:135], 0// 000000005710: D3AD00B4 0A030108
	buffer_load_dword v21, v6, s[16:19], 0 offen               // 000000005718: E0501000 80041506
	buffer_load_dwordx4 a[128:131], v37, s[12:15], 0 offen     // 000000005720: E05C1000 80838025
	buffer_load_dwordx4 a[132:135], v37, s[12:15], 0 offen offset:1024// 000000005728: E05C1400 80838425
	buffer_load_dwordx4 a[136:139], v38, s[12:15], 0 offen     // 000000005730: E05C1000 80838826
	buffer_load_dwordx4 a[140:143], v38, s[12:15], 0 offen offset:1024// 000000005738: E05C1400 80838C26
	s_waitcnt vmcnt(29)                                        // 000000005740: BF8C4F7D
	v_mfma_f32_16x16x128_f8f6f4 v[184:187], a[16:23], v[128:135], 0// 000000005744: D3AD00B8 0A030110
	v_mfma_f32_16x16x128_f8f6f4 v[188:191], a[24:31], v[128:135], 0// 00000000574C: D3AD00BC 0A030118
	buffer_load_dwordx4 a[144:147], v39, s[12:15], 0 offen     // 000000005754: E05C1000 80839027
	buffer_load_dwordx4 a[148:151], v39, s[12:15], 0 offen offset:1024// 00000000575C: E05C1400 80839427
	buffer_load_dwordx4 a[152:155], v40, s[12:15], 0 offen     // 000000005764: E05C1000 80839828
	buffer_load_dwordx4 a[156:159], v40, s[12:15], 0 offen offset:1024// 00000000576C: E05C1400 80839C28
	s_add_u32 s12, s78, s12                                    // 000000005774: 800C0C4E
	s_addc_u32 s13, 0, s13                                     // 000000005778: 820D0D80
	v_mul_f32_dpp v46, v19, v28 row_newbcast:0 row_mask:0xf bank_mask:0xf// 00000000577C: 0A5C38FA FF015013
	v_mov_b32_e32 v47, v46                                     // 000000005784: 7E5E032E
	v_pk_mul_f32 v[176:177], v[46:47], v[176:177]              // 000000005788: D3B140B0 1803612E
	v_pk_mul_f32 v[178:179], v[46:47], v[178:179]              // 000000005790: D3B140B2 1803652E
	v_pk_mul_f32 v[180:181], v[46:47], v[180:181]              // 000000005798: D3B140B4 1803692E
	v_pk_mul_f32 v[182:183], v[46:47], v[182:183]              // 0000000057A0: D3B140B6 18036D2E
	v_mul_f32_dpp v46, v19, v28 row_newbcast:1 row_mask:0xf bank_mask:0xf// 0000000057A8: 0A5C38FA FF015113
	v_mov_b32_e32 v47, v46                                     // 0000000057B0: 7E5E032E
	v_pk_mul_f32 v[184:185], v[46:47], v[184:185]              // 0000000057B4: D3B140B8 1803712E
	v_pk_mul_f32 v[186:187], v[46:47], v[186:187]              // 0000000057BC: D3B140BA 1803752E
	v_pk_mul_f32 v[188:189], v[46:47], v[188:189]              // 0000000057C4: D3B140BC 1803792E
	v_pk_mul_f32 v[190:191], v[46:47], v[190:191]              // 0000000057CC: D3B140BE 18037D2E
	s_waitcnt vmcnt(29)                                        // 0000000057D4: BF8C4F7D
	v_mfma_f32_16x16x128_f8f6f4 v[144:147], a[32:39], v[136:143], 0// 0000000057D8: D3AD0090 0A031120
	ds_write_b64 v4, v[160:161] offset:11776                   // 0000000057E0: D89A2E00 0000A004
	ds_write_b64 v4, v[162:163] offset:13952                   // 0000000057E8: D89A3680 0000A204
	ds_write_b64 v4, v[164:165] offset:16128                   // 0000000057F0: D89A3F00 0000A404
	ds_write_b64 v4, v[166:167] offset:18304                   // 0000000057F8: D89A4780 0000A604
	v_mfma_f32_16x16x128_f8f6f4 v[148:151], a[40:47], v[136:143], 0// 000000005800: D3AD0094 0A031128
	buffer_load_dwordx4 a[160:163], v37, s[12:15], 0 offen     // 000000005808: E05C1000 8083A025
	buffer_load_dwordx4 a[164:167], v37, s[12:15], 0 offen offset:1024// 000000005810: E05C1400 8083A425
	buffer_load_dwordx4 a[168:171], v38, s[12:15], 0 offen     // 000000005818: E05C1000 8083A826
	buffer_load_dwordx4 a[172:175], v38, s[12:15], 0 offen offset:1024// 000000005820: E05C1400 8083AC26
	s_waitcnt vmcnt(29)                                        // 000000005828: BF8C4F7D
	v_mfma_f32_16x16x128_f8f6f4 v[152:155], a[48:55], v[136:143], 0// 00000000582C: D3AD0098 0A031130
	v_mfma_f32_16x16x128_f8f6f4 v[156:159], a[56:63], v[136:143], 0// 000000005834: D3AD009C 0A031138
	buffer_load_dwordx4 a[176:179], v39, s[12:15], 0 offen     // 00000000583C: E05C1000 8083B027
	buffer_load_dwordx4 a[180:183], v39, s[12:15], 0 offen offset:1024// 000000005844: E05C1400 8083B427
	buffer_load_dwordx4 a[184:187], v40, s[12:15], 0 offen     // 00000000584C: E05C1000 8083B828
	buffer_load_dwordx4 a[188:191], v40, s[12:15], 0 offen offset:1024// 000000005854: E05C1400 8083BC28
	v_mul_f32_dpp v46, v19, v29 row_newbcast:2 row_mask:0xf bank_mask:0xf// 00000000585C: 0A5C3AFA FF015213
	v_mov_b32_e32 v47, v46                                     // 000000005864: 7E5E032E
	v_pk_fma_f32 v[176:177], v[144:145], v[46:47], v[176:177]  // 000000005868: D3B040B0 1EC25D90
	v_pk_fma_f32 v[178:179], v[146:147], v[46:47], v[178:179]  // 000000005870: D3B040B2 1ECA5D92
	v_pk_fma_f32 v[180:181], v[148:149], v[46:47], v[180:181]  // 000000005878: D3B040B4 1ED25D94
	v_pk_fma_f32 v[182:183], v[150:151], v[46:47], v[182:183]  // 000000005880: D3B040B6 1EDA5D96
	v_mul_f32_dpp v46, v19, v29 row_newbcast:3 row_mask:0xf bank_mask:0xf// 000000005888: 0A5C3AFA FF015313
	v_mov_b32_e32 v47, v46                                     // 000000005890: 7E5E032E
	v_pk_fma_f32 v[184:185], v[152:153], v[46:47], v[184:185]  // 000000005894: D3B040B8 1EE25D98
	v_pk_fma_f32 v[186:187], v[154:155], v[46:47], v[186:187]  // 00000000589C: D3B040BA 1EEA5D9A
	v_pk_fma_f32 v[188:189], v[156:157], v[46:47], v[188:189]  // 0000000058A4: D3B040BC 1EF25D9C
	v_pk_fma_f32 v[190:191], v[158:159], v[46:47], v[190:191]  // 0000000058AC: D3B040BE 1EFA5D9E
	s_add_u32 s60, 0x300, s80                                  // 0000000058B4: 803C50FF 00000300
	s_cmp_lt_u32 s60, s81                                      // 0000000058BC: BF0A513C
	s_cselect_b32 s56, s56, 0                                  // 0000000058C0: 85388038
	s_cselect_b32 s78, s78, 0                                  // 0000000058C4: 854E804E
	s_cselect_b32 s79, s79, 0                                  // 0000000058C8: 854F804F
	s_add_u32 s12, s56, s12                                    // 0000000058CC: 800C0C38
	s_addc_u32 s13, 0, s13                                     // 0000000058D0: 820D0D80
	s_add_u32 s16, s79, s16                                    // 0000000058D4: 8010104F
	s_addc_u32 s17, 0, s17                                     // 0000000058D8: 82111180
	v_mov_b32_e32 v46, v23                                     // 0000000058DC: 7E5C0317
	v_mov_b32_e32 v47, v23                                     // 0000000058E0: 7E5E0317
	v_pk_mul_f32 v[176:177], v[46:47], v[176:177]              // 0000000058E4: D3B140B0 1803612E
	v_pk_mul_f32 v[178:179], v[46:47], v[178:179]              // 0000000058EC: D3B140B2 1803652E
	v_pk_mul_f32 v[180:181], v[46:47], v[180:181]              // 0000000058F4: D3B140B4 1803692E
	v_pk_mul_f32 v[182:183], v[46:47], v[182:183]              // 0000000058FC: D3B140B6 18036D2E
	v_pk_mul_f32 v[184:185], v[46:47], v[184:185]              // 000000005904: D3B140B8 1803712E
	v_pk_mul_f32 v[186:187], v[46:47], v[186:187]              // 00000000590C: D3B140BA 1803752E
	v_pk_mul_f32 v[188:189], v[46:47], v[188:189]              // 000000005914: D3B140BC 1803792E
	v_pk_mul_f32 v[190:191], v[46:47], v[190:191]              // 00000000591C: D3B140BE 18037D2E
	v_cvt_pk_bf16_f32 v176, v176, v177                         // 000000005924: D26800B0 000363B0
	v_cvt_pk_bf16_f32 v177, v178, v179                         // 00000000592C: D26800B1 000367B2
	v_cvt_pk_bf16_f32 v178, v180, v181                         // 000000005934: D26800B2 00036BB4
	v_cvt_pk_bf16_f32 v179, v182, v183                         // 00000000593C: D26800B3 00036FB6
	v_cvt_pk_bf16_f32 v180, v184, v185                         // 000000005944: D26800B4 000373B8
	v_cvt_pk_bf16_f32 v181, v186, v187                         // 00000000594C: D26800B5 000377BA
	v_cvt_pk_bf16_f32 v182, v188, v189                         // 000000005954: D26800B6 00037BBC
	v_cvt_pk_bf16_f32 v183, v190, v191                         // 00000000595C: D26800B7 00037FBE
	s_cmp_ge_u32 s80, 0x200                                    // 000000005964: BF09FF50 00000200
	s_cselect_b32 s59, 0x200, s59                              // 00000000596C: 853B3BFF 00000200
	s_waitcnt lgkmcnt(0)                                       // 000000005974: BF8CC07F
	s_barrier                                                  // 000000005978: BF8A0000
	s_setvskip s20, 0                                          // 00000000597C: BF108014
	global_atomic_pk_add_bf16 v80, v64, s[8:9]                 // 000000005980: DD488000 00084050
	s_setvskip 0, 0                                            // 000000005988: BF108080
	s_setvskip s20, 0                                          // 00000000598C: BF108014
	global_atomic_pk_add_bf16 v80, v65, s[8:9] offset:256      // 000000005990: DD488100 00084150
	s_setvskip 0, 0                                            // 000000005998: BF108080
	s_setvskip s20, 1                                          // 00000000599C: BF108114
	global_atomic_pk_add_bf16 v82, v66, s[8:9]                 // 0000000059A0: DD488000 00084252
	s_setvskip 0, 0                                            // 0000000059A8: BF108080
	s_setvskip s20, 1                                          // 0000000059AC: BF108114
	global_atomic_pk_add_bf16 v82, v67, s[8:9] offset:256      // 0000000059B0: DD488100 00084352
	s_setvskip 0, 0                                            // 0000000059B8: BF108080
	s_setvskip s20, 2                                          // 0000000059BC: BF108214
	global_atomic_pk_add_bf16 v84, v68, s[8:9]                 // 0000000059C0: DD488000 00084454
	s_setvskip 0, 0                                            // 0000000059C8: BF108080
	s_setvskip s20, 2                                          // 0000000059CC: BF108214
	global_atomic_pk_add_bf16 v84, v69, s[8:9] offset:256      // 0000000059D0: DD488100 00084554
	s_setvskip 0, 0                                            // 0000000059D8: BF108080
	s_setvskip s20, 3                                          // 0000000059DC: BF108314
	global_atomic_pk_add_bf16 v86, v70, s[8:9]                 // 0000000059E0: DD488000 00084656
	s_setvskip 0, 0                                            // 0000000059E8: BF108080
	s_setvskip s20, 3                                          // 0000000059EC: BF108314
	global_atomic_pk_add_bf16 v86, v71, s[8:9] offset:256      // 0000000059F0: DD488100 00084756
	s_setvskip 0, 0                                            // 0000000059F8: BF108080
	s_add_u32 s8, s59, s8                                      // 0000000059FC: 8008083B
	s_addc_u32 s9, 0, s9                                       // 000000005A00: 82090980
	s_addk_i32 s80, 0x100                                      // 000000005A04: B7500100
	s_cmp_lt_i32 s80, s81                                      // 000000005A08: BF045150
	s_cbranch_scc0 label_0CAD                                  // 000000005A0C: BF8401A9
	s_waitcnt vmcnt(29) lgkmcnt(0)                             // 000000005A10: BF8C407D
	s_barrier                                                  // 000000005A14: BF8A0000
	v_mfma_f32_16x16x128_f8f6f4 v[160:163], a[64:71], v[128:135], 0// 000000005A18: D3AD00A0 0A030140
	ds_read_b32 v64, v5 offset:11776                           // 000000005A20: D86C2E00 40000005
	ds_read_b32 v65, v5 offset:16128                           // 000000005A28: D86C3F00 41000005
	ds_read_b32 v66, v5 offset:11784                           // 000000005A30: D86C2E08 42000005
	ds_read_b32 v67, v5 offset:16136                           // 000000005A38: D86C3F08 43000005
	ds_read_b32 v68, v5 offset:11808                           // 000000005A40: D86C2E20 44000005
	ds_read_b32 v69, v5 offset:16160                           // 000000005A48: D86C3F20 45000005
	ds_read_b32 v70, v5 offset:11816                           // 000000005A50: D86C2E28 46000005
	ds_read_b32 v71, v5 offset:16168                           // 000000005A58: D86C3F28 47000005
	v_mfma_f32_16x16x128_f8f6f4 v[164:167], a[72:79], v[128:135], 0// 000000005A60: D3AD00A4 0A030148
	buffer_load_dword v19, v6, s[16:19], 0 offen               // 000000005A68: E0501000 80041306
	buffer_load_dwordx4 a[0:3], v37, s[12:15], 0 offen         // 000000005A70: E05C1000 80830025
	buffer_load_dwordx4 a[4:7], v37, s[12:15], 0 offen offset:1024// 000000005A78: E05C1400 80830425
	buffer_load_dwordx4 a[8:11], v38, s[12:15], 0 offen        // 000000005A80: E05C1000 80830826
	buffer_load_dwordx4 a[12:15], v38, s[12:15], 0 offen offset:1024// 000000005A88: E05C1400 80830C26
	s_waitcnt vmcnt(29)                                        // 000000005A90: BF8C4F7D
	v_mfma_f32_16x16x128_f8f6f4 v[168:171], a[80:87], v[128:135], 0// 000000005A94: D3AD00A8 0A030150
	v_mfma_f32_16x16x128_f8f6f4 v[172:175], a[88:95], v[128:135], 0// 000000005A9C: D3AD00AC 0A030158
	buffer_load_dwordx4 a[16:19], v39, s[12:15], 0 offen       // 000000005AA4: E05C1000 80831027
	buffer_load_dwordx4 a[20:23], v39, s[12:15], 0 offen offset:1024// 000000005AAC: E05C1400 80831427
	buffer_load_dwordx4 a[24:27], v40, s[12:15], 0 offen       // 000000005AB4: E05C1000 80831828
	buffer_load_dwordx4 a[28:31], v40, s[12:15], 0 offen offset:1024// 000000005ABC: E05C1400 80831C28
	s_add_u32 s12, s78, s12                                    // 000000005AC4: 800C0C4E
	s_addc_u32 s13, 0, s13                                     // 000000005AC8: 820D0D80
	v_mul_f32_dpp v46, v20, v28 row_newbcast:0 row_mask:0xf bank_mask:0xf// 000000005ACC: 0A5C38FA FF015014
	v_mov_b32_e32 v47, v46                                     // 000000005AD4: 7E5E032E
	v_pk_mul_f32 v[160:161], v[46:47], v[160:161]              // 000000005AD8: D3B140A0 1803412E
	v_pk_mul_f32 v[162:163], v[46:47], v[162:163]              // 000000005AE0: D3B140A2 1803452E
	v_pk_mul_f32 v[164:165], v[46:47], v[164:165]              // 000000005AE8: D3B140A4 1803492E
	v_pk_mul_f32 v[166:167], v[46:47], v[166:167]              // 000000005AF0: D3B140A6 18034D2E
	v_mul_f32_dpp v46, v20, v28 row_newbcast:1 row_mask:0xf bank_mask:0xf// 000000005AF8: 0A5C38FA FF015114
	v_mov_b32_e32 v47, v46                                     // 000000005B00: 7E5E032E
	v_pk_mul_f32 v[168:169], v[46:47], v[168:169]              // 000000005B04: D3B140A8 1803512E
	v_pk_mul_f32 v[170:171], v[46:47], v[170:171]              // 000000005B0C: D3B140AA 1803552E
	v_pk_mul_f32 v[172:173], v[46:47], v[172:173]              // 000000005B14: D3B140AC 1803592E
	v_pk_mul_f32 v[174:175], v[46:47], v[174:175]              // 000000005B1C: D3B140AE 18035D2E
	s_waitcnt vmcnt(29)                                        // 000000005B24: BF8C4F7D
	v_mfma_f32_16x16x128_f8f6f4 v[144:147], a[96:103], v[136:143], 0// 000000005B28: D3AD0090 0A031160
	ds_write_b64 v4, v[176:177] offset:29184                   // 000000005B30: D89A7200 0000B004
	ds_write_b64 v4, v[178:179] offset:31360                   // 000000005B38: D89A7A80 0000B204
	ds_write_b64 v4, v[180:181] offset:33536                   // 000000005B40: D89A8300 0000B404
	ds_write_b64 v4, v[182:183] offset:35712                   // 000000005B48: D89A8B80 0000B604
	v_mfma_f32_16x16x128_f8f6f4 v[148:151], a[104:111], v[136:143], 0// 000000005B50: D3AD0094 0A031168
	buffer_load_dwordx4 a[32:35], v37, s[12:15], 0 offen       // 000000005B58: E05C1000 80832025
	buffer_load_dwordx4 a[36:39], v37, s[12:15], 0 offen offset:1024// 000000005B60: E05C1400 80832425
	buffer_load_dwordx4 a[40:43], v38, s[12:15], 0 offen       // 000000005B68: E05C1000 80832826
	buffer_load_dwordx4 a[44:47], v38, s[12:15], 0 offen offset:1024// 000000005B70: E05C1400 80832C26
	s_waitcnt vmcnt(29)                                        // 000000005B78: BF8C4F7D
	v_mfma_f32_16x16x128_f8f6f4 v[152:155], a[112:119], v[136:143], 0// 000000005B7C: D3AD0098 0A031170
	v_mfma_f32_16x16x128_f8f6f4 v[156:159], a[120:127], v[136:143], 0// 000000005B84: D3AD009C 0A031178
	buffer_load_dwordx4 a[48:51], v39, s[12:15], 0 offen       // 000000005B8C: E05C1000 80833027
	buffer_load_dwordx4 a[52:55], v39, s[12:15], 0 offen offset:1024// 000000005B94: E05C1400 80833427
	buffer_load_dwordx4 a[56:59], v40, s[12:15], 0 offen       // 000000005B9C: E05C1000 80833828
	buffer_load_dwordx4 a[60:63], v40, s[12:15], 0 offen offset:1024// 000000005BA4: E05C1400 80833C28
	v_mul_f32_dpp v46, v20, v29 row_newbcast:2 row_mask:0xf bank_mask:0xf// 000000005BAC: 0A5C3AFA FF015214
	v_mov_b32_e32 v47, v46                                     // 000000005BB4: 7E5E032E
	v_pk_fma_f32 v[160:161], v[144:145], v[46:47], v[160:161]  // 000000005BB8: D3B040A0 1E825D90
	v_pk_fma_f32 v[162:163], v[146:147], v[46:47], v[162:163]  // 000000005BC0: D3B040A2 1E8A5D92
	v_pk_fma_f32 v[164:165], v[148:149], v[46:47], v[164:165]  // 000000005BC8: D3B040A4 1E925D94
	v_pk_fma_f32 v[166:167], v[150:151], v[46:47], v[166:167]  // 000000005BD0: D3B040A6 1E9A5D96
	v_mul_f32_dpp v46, v20, v29 row_newbcast:3 row_mask:0xf bank_mask:0xf// 000000005BD8: 0A5C3AFA FF015314
	v_mov_b32_e32 v47, v46                                     // 000000005BE0: 7E5E032E
	v_pk_fma_f32 v[168:169], v[152:153], v[46:47], v[168:169]  // 000000005BE4: D3B040A8 1EA25D98
	v_pk_fma_f32 v[170:171], v[154:155], v[46:47], v[170:171]  // 000000005BEC: D3B040AA 1EAA5D9A
	v_pk_fma_f32 v[172:173], v[156:157], v[46:47], v[172:173]  // 000000005BF4: D3B040AC 1EB25D9C
	v_pk_fma_f32 v[174:175], v[158:159], v[46:47], v[174:175]  // 000000005BFC: D3B040AE 1EBA5D9E
	s_add_u32 s60, 0x300, s80                                  // 000000005C04: 803C50FF 00000300
	s_cmp_lt_u32 s60, s81                                      // 000000005C0C: BF0A513C
	s_cselect_b32 s56, s56, 0                                  // 000000005C10: 85388038
	s_cselect_b32 s78, s78, 0                                  // 000000005C14: 854E804E
	s_cselect_b32 s79, s79, 0                                  // 000000005C18: 854F804F
	s_add_u32 s12, s56, s12                                    // 000000005C1C: 800C0C38
	s_addc_u32 s13, 0, s13                                     // 000000005C20: 820D0D80
	s_add_u32 s16, s79, s16                                    // 000000005C24: 8010104F
	s_addc_u32 s17, 0, s17                                     // 000000005C28: 82111180
	v_mov_b32_e32 v46, v23                                     // 000000005C2C: 7E5C0317
	v_mov_b32_e32 v47, v23                                     // 000000005C30: 7E5E0317
	v_pk_mul_f32 v[160:161], v[46:47], v[160:161]              // 000000005C34: D3B140A0 1803412E
	v_pk_mul_f32 v[162:163], v[46:47], v[162:163]              // 000000005C3C: D3B140A2 1803452E
	v_pk_mul_f32 v[164:165], v[46:47], v[164:165]              // 000000005C44: D3B140A4 1803492E
	v_pk_mul_f32 v[166:167], v[46:47], v[166:167]              // 000000005C4C: D3B140A6 18034D2E
	v_pk_mul_f32 v[168:169], v[46:47], v[168:169]              // 000000005C54: D3B140A8 1803512E
	v_pk_mul_f32 v[170:171], v[46:47], v[170:171]              // 000000005C5C: D3B140AA 1803552E
	v_pk_mul_f32 v[172:173], v[46:47], v[172:173]              // 000000005C64: D3B140AC 1803592E
	v_pk_mul_f32 v[174:175], v[46:47], v[174:175]              // 000000005C6C: D3B140AE 18035D2E
	v_cvt_pk_bf16_f32 v160, v160, v161                         // 000000005C74: D26800A0 000343A0
	v_cvt_pk_bf16_f32 v161, v162, v163                         // 000000005C7C: D26800A1 000347A2
	v_cvt_pk_bf16_f32 v162, v164, v165                         // 000000005C84: D26800A2 00034BA4
	v_cvt_pk_bf16_f32 v163, v166, v167                         // 000000005C8C: D26800A3 00034FA6
	v_cvt_pk_bf16_f32 v164, v168, v169                         // 000000005C94: D26800A4 000353A8
	v_cvt_pk_bf16_f32 v165, v170, v171                         // 000000005C9C: D26800A5 000357AA
	v_cvt_pk_bf16_f32 v166, v172, v173                         // 000000005CA4: D26800A6 00035BAC
	v_cvt_pk_bf16_f32 v167, v174, v175                         // 000000005CAC: D26800A7 00035FAE
	s_cmp_ge_u32 s80, 0x200                                    // 000000005CB4: BF09FF50 00000200
	s_cselect_b32 s59, 0x200, s59                              // 000000005CBC: 853B3BFF 00000200
	s_waitcnt lgkmcnt(0)                                       // 000000005CC4: BF8CC07F
	s_barrier                                                  // 000000005CC8: BF8A0000
	s_setvskip s20, 0                                          // 000000005CCC: BF108014
	global_atomic_pk_add_bf16 v80, v64, s[8:9]                 // 000000005CD0: DD488000 00084050
	s_setvskip 0, 0                                            // 000000005CD8: BF108080
	s_setvskip s20, 0                                          // 000000005CDC: BF108014
	global_atomic_pk_add_bf16 v80, v65, s[8:9] offset:256      // 000000005CE0: DD488100 00084150
	s_setvskip 0, 0                                            // 000000005CE8: BF108080
	s_setvskip s20, 1                                          // 000000005CEC: BF108114
	global_atomic_pk_add_bf16 v82, v66, s[8:9]                 // 000000005CF0: DD488000 00084252
	s_setvskip 0, 0                                            // 000000005CF8: BF108080
	s_setvskip s20, 1                                          // 000000005CFC: BF108114
	global_atomic_pk_add_bf16 v82, v67, s[8:9] offset:256      // 000000005D00: DD488100 00084352
	s_setvskip 0, 0                                            // 000000005D08: BF108080
	s_setvskip s20, 2                                          // 000000005D0C: BF108214
	global_atomic_pk_add_bf16 v84, v68, s[8:9]                 // 000000005D10: DD488000 00084454
	s_setvskip 0, 0                                            // 000000005D18: BF108080
	s_setvskip s20, 2                                          // 000000005D1C: BF108214
	global_atomic_pk_add_bf16 v84, v69, s[8:9] offset:256      // 000000005D20: DD488100 00084554
	s_setvskip 0, 0                                            // 000000005D28: BF108080
	s_setvskip s20, 3                                          // 000000005D2C: BF108314
	global_atomic_pk_add_bf16 v86, v70, s[8:9]                 // 000000005D30: DD488000 00084656
	s_setvskip 0, 0                                            // 000000005D38: BF108080
	s_setvskip s20, 3                                          // 000000005D3C: BF108314
	global_atomic_pk_add_bf16 v86, v71, s[8:9] offset:256      // 000000005D40: DD488100 00084756
	s_setvskip 0, 0                                            // 000000005D48: BF108080
	s_add_u32 s8, s59, s8                                      // 000000005D4C: 8008083B
	s_addc_u32 s9, 0, s9                                       // 000000005D50: 82090980
	s_addk_i32 s80, 0x100                                      // 000000005D54: B7500100
	s_cmp_lt_i32 s80, s81                                      // 000000005D58: BF045150
	s_cbranch_scc0 label_0CAD                                  // 000000005D5C: BF8400D5
	s_waitcnt vmcnt(29) lgkmcnt(0)                             // 000000005D60: BF8C407D
	s_barrier                                                  // 000000005D64: BF8A0000
	v_mfma_f32_16x16x128_f8f6f4 v[176:179], a[128:135], v[128:135], 0// 000000005D68: D3AD00B0 0A030180
	ds_read_b32 v64, v5 offset:29184                           // 000000005D70: D86C7200 40000005
	ds_read_b32 v65, v5 offset:33536                           // 000000005D78: D86C8300 41000005
	ds_read_b32 v66, v5 offset:29192                           // 000000005D80: D86C7208 42000005
	ds_read_b32 v67, v5 offset:33544                           // 000000005D88: D86C8308 43000005
	ds_read_b32 v68, v5 offset:29216                           // 000000005D90: D86C7220 44000005
	ds_read_b32 v69, v5 offset:33568                           // 000000005D98: D86C8320 45000005
	ds_read_b32 v70, v5 offset:29224                           // 000000005DA0: D86C7228 46000005
	ds_read_b32 v71, v5 offset:33576                           // 000000005DA8: D86C8328 47000005
	v_mfma_f32_16x16x128_f8f6f4 v[180:183], a[136:143], v[128:135], 0// 000000005DB0: D3AD00B4 0A030188
	buffer_load_dword v20, v6, s[16:19], 0 offen               // 000000005DB8: E0501000 80041406
	buffer_load_dwordx4 a[64:67], v37, s[12:15], 0 offen       // 000000005DC0: E05C1000 80834025
	buffer_load_dwordx4 a[68:71], v37, s[12:15], 0 offen offset:1024// 000000005DC8: E05C1400 80834425
	buffer_load_dwordx4 a[72:75], v38, s[12:15], 0 offen       // 000000005DD0: E05C1000 80834826
	buffer_load_dwordx4 a[76:79], v38, s[12:15], 0 offen offset:1024// 000000005DD8: E05C1400 80834C26
	s_waitcnt vmcnt(29)                                        // 000000005DE0: BF8C4F7D
	v_mfma_f32_16x16x128_f8f6f4 v[184:187], a[144:151], v[128:135], 0// 000000005DE4: D3AD00B8 0A030190
	v_mfma_f32_16x16x128_f8f6f4 v[188:191], a[152:159], v[128:135], 0// 000000005DEC: D3AD00BC 0A030198
	buffer_load_dwordx4 a[80:83], v39, s[12:15], 0 offen       // 000000005DF4: E05C1000 80835027
	buffer_load_dwordx4 a[84:87], v39, s[12:15], 0 offen offset:1024// 000000005DFC: E05C1400 80835427
	buffer_load_dwordx4 a[88:91], v40, s[12:15], 0 offen       // 000000005E04: E05C1000 80835828
	buffer_load_dwordx4 a[92:95], v40, s[12:15], 0 offen offset:1024// 000000005E0C: E05C1400 80835C28
	s_add_u32 s12, s78, s12                                    // 000000005E14: 800C0C4E
	s_addc_u32 s13, 0, s13                                     // 000000005E18: 820D0D80
	v_mul_f32_dpp v46, v21, v28 row_newbcast:0 row_mask:0xf bank_mask:0xf// 000000005E1C: 0A5C38FA FF015015
	v_mov_b32_e32 v47, v46                                     // 000000005E24: 7E5E032E
	v_pk_mul_f32 v[176:177], v[46:47], v[176:177]              // 000000005E28: D3B140B0 1803612E
	v_pk_mul_f32 v[178:179], v[46:47], v[178:179]              // 000000005E30: D3B140B2 1803652E
	v_pk_mul_f32 v[180:181], v[46:47], v[180:181]              // 000000005E38: D3B140B4 1803692E
	v_pk_mul_f32 v[182:183], v[46:47], v[182:183]              // 000000005E40: D3B140B6 18036D2E
	v_mul_f32_dpp v46, v21, v28 row_newbcast:1 row_mask:0xf bank_mask:0xf// 000000005E48: 0A5C38FA FF015115
	v_mov_b32_e32 v47, v46                                     // 000000005E50: 7E5E032E
	v_pk_mul_f32 v[184:185], v[46:47], v[184:185]              // 000000005E54: D3B140B8 1803712E
	v_pk_mul_f32 v[186:187], v[46:47], v[186:187]              // 000000005E5C: D3B140BA 1803752E
	v_pk_mul_f32 v[188:189], v[46:47], v[188:189]              // 000000005E64: D3B140BC 1803792E
	v_pk_mul_f32 v[190:191], v[46:47], v[190:191]              // 000000005E6C: D3B140BE 18037D2E
	s_waitcnt vmcnt(29)                                        // 000000005E74: BF8C4F7D
	v_mfma_f32_16x16x128_f8f6f4 v[144:147], a[160:167], v[136:143], 0// 000000005E78: D3AD0090 0A0311A0
	ds_write_b64 v4, v[160:161] offset:11776                   // 000000005E80: D89A2E00 0000A004
	ds_write_b64 v4, v[162:163] offset:13952                   // 000000005E88: D89A3680 0000A204
	ds_write_b64 v4, v[164:165] offset:16128                   // 000000005E90: D89A3F00 0000A404
	ds_write_b64 v4, v[166:167] offset:18304                   // 000000005E98: D89A4780 0000A604
	v_mfma_f32_16x16x128_f8f6f4 v[148:151], a[168:175], v[136:143], 0// 000000005EA0: D3AD0094 0A0311A8
	buffer_load_dwordx4 a[96:99], v37, s[12:15], 0 offen       // 000000005EA8: E05C1000 80836025
	buffer_load_dwordx4 a[100:103], v37, s[12:15], 0 offen offset:1024// 000000005EB0: E05C1400 80836425
	buffer_load_dwordx4 a[104:107], v38, s[12:15], 0 offen     // 000000005EB8: E05C1000 80836826
	buffer_load_dwordx4 a[108:111], v38, s[12:15], 0 offen offset:1024// 000000005EC0: E05C1400 80836C26
	s_waitcnt vmcnt(29)                                        // 000000005EC8: BF8C4F7D
	v_mfma_f32_16x16x128_f8f6f4 v[152:155], a[176:183], v[136:143], 0// 000000005ECC: D3AD0098 0A0311B0
	v_mfma_f32_16x16x128_f8f6f4 v[156:159], a[184:191], v[136:143], 0// 000000005ED4: D3AD009C 0A0311B8
	buffer_load_dwordx4 a[112:115], v39, s[12:15], 0 offen     // 000000005EDC: E05C1000 80837027
	buffer_load_dwordx4 a[116:119], v39, s[12:15], 0 offen offset:1024// 000000005EE4: E05C1400 80837427
	buffer_load_dwordx4 a[120:123], v40, s[12:15], 0 offen     // 000000005EEC: E05C1000 80837828
	buffer_load_dwordx4 a[124:127], v40, s[12:15], 0 offen offset:1024// 000000005EF4: E05C1400 80837C28
	v_mul_f32_dpp v46, v21, v29 row_newbcast:2 row_mask:0xf bank_mask:0xf// 000000005EFC: 0A5C3AFA FF015215
	v_mov_b32_e32 v47, v46                                     // 000000005F04: 7E5E032E
	v_pk_fma_f32 v[176:177], v[144:145], v[46:47], v[176:177]  // 000000005F08: D3B040B0 1EC25D90
	v_pk_fma_f32 v[178:179], v[146:147], v[46:47], v[178:179]  // 000000005F10: D3B040B2 1ECA5D92
	v_pk_fma_f32 v[180:181], v[148:149], v[46:47], v[180:181]  // 000000005F18: D3B040B4 1ED25D94
	v_pk_fma_f32 v[182:183], v[150:151], v[46:47], v[182:183]  // 000000005F20: D3B040B6 1EDA5D96
	v_mul_f32_dpp v46, v21, v29 row_newbcast:3 row_mask:0xf bank_mask:0xf// 000000005F28: 0A5C3AFA FF015315
	v_mov_b32_e32 v47, v46                                     // 000000005F30: 7E5E032E
	v_pk_fma_f32 v[184:185], v[152:153], v[46:47], v[184:185]  // 000000005F34: D3B040B8 1EE25D98
	v_pk_fma_f32 v[186:187], v[154:155], v[46:47], v[186:187]  // 000000005F3C: D3B040BA 1EEA5D9A
	v_pk_fma_f32 v[188:189], v[156:157], v[46:47], v[188:189]  // 000000005F44: D3B040BC 1EF25D9C
	v_pk_fma_f32 v[190:191], v[158:159], v[46:47], v[190:191]  // 000000005F4C: D3B040BE 1EFA5D9E
	s_add_u32 s60, 0x300, s80                                  // 000000005F54: 803C50FF 00000300
	s_cmp_lt_u32 s60, s81                                      // 000000005F5C: BF0A513C
	s_cselect_b32 s56, s56, 0                                  // 000000005F60: 85388038
	s_cselect_b32 s78, s78, 0                                  // 000000005F64: 854E804E
	s_cselect_b32 s79, s79, 0                                  // 000000005F68: 854F804F
	s_add_u32 s12, s56, s12                                    // 000000005F6C: 800C0C38
	s_addc_u32 s13, 0, s13                                     // 000000005F70: 820D0D80
	s_add_u32 s16, s79, s16                                    // 000000005F74: 8010104F
	s_addc_u32 s17, 0, s17                                     // 000000005F78: 82111180
	v_mov_b32_e32 v46, v23                                     // 000000005F7C: 7E5C0317
	v_mov_b32_e32 v47, v23                                     // 000000005F80: 7E5E0317
	v_pk_mul_f32 v[176:177], v[46:47], v[176:177]              // 000000005F84: D3B140B0 1803612E
	v_pk_mul_f32 v[178:179], v[46:47], v[178:179]              // 000000005F8C: D3B140B2 1803652E
	v_pk_mul_f32 v[180:181], v[46:47], v[180:181]              // 000000005F94: D3B140B4 1803692E
	v_pk_mul_f32 v[182:183], v[46:47], v[182:183]              // 000000005F9C: D3B140B6 18036D2E
	v_pk_mul_f32 v[184:185], v[46:47], v[184:185]              // 000000005FA4: D3B140B8 1803712E
	v_pk_mul_f32 v[186:187], v[46:47], v[186:187]              // 000000005FAC: D3B140BA 1803752E
	v_pk_mul_f32 v[188:189], v[46:47], v[188:189]              // 000000005FB4: D3B140BC 1803792E
	v_pk_mul_f32 v[190:191], v[46:47], v[190:191]              // 000000005FBC: D3B140BE 18037D2E
	v_cvt_pk_bf16_f32 v176, v176, v177                         // 000000005FC4: D26800B0 000363B0
	v_cvt_pk_bf16_f32 v177, v178, v179                         // 000000005FCC: D26800B1 000367B2
	v_cvt_pk_bf16_f32 v178, v180, v181                         // 000000005FD4: D26800B2 00036BB4
	v_cvt_pk_bf16_f32 v179, v182, v183                         // 000000005FDC: D26800B3 00036FB6
	v_cvt_pk_bf16_f32 v180, v184, v185                         // 000000005FE4: D26800B4 000373B8
	v_cvt_pk_bf16_f32 v181, v186, v187                         // 000000005FEC: D26800B5 000377BA
	v_cvt_pk_bf16_f32 v182, v188, v189                         // 000000005FF4: D26800B6 00037BBC
	v_cvt_pk_bf16_f32 v183, v190, v191                         // 000000005FFC: D26800B7 00037FBE
	s_cmp_ge_u32 s80, 0x200                                    // 000000006004: BF09FF50 00000200
	s_cselect_b32 s59, 0x200, s59                              // 00000000600C: 853B3BFF 00000200
	s_waitcnt lgkmcnt(0)                                       // 000000006014: BF8CC07F
	s_barrier                                                  // 000000006018: BF8A0000
	s_setvskip s20, 0                                          // 00000000601C: BF108014
	global_atomic_pk_add_bf16 v80, v64, s[8:9]                 // 000000006020: DD488000 00084050
	s_setvskip 0, 0                                            // 000000006028: BF108080
	s_setvskip s20, 0                                          // 00000000602C: BF108014
	global_atomic_pk_add_bf16 v80, v65, s[8:9] offset:256      // 000000006030: DD488100 00084150
	s_setvskip 0, 0                                            // 000000006038: BF108080
	s_setvskip s20, 1                                          // 00000000603C: BF108114
	global_atomic_pk_add_bf16 v82, v66, s[8:9]                 // 000000006040: DD488000 00084252
	s_setvskip 0, 0                                            // 000000006048: BF108080
	s_setvskip s20, 1                                          // 00000000604C: BF108114
	global_atomic_pk_add_bf16 v82, v67, s[8:9] offset:256      // 000000006050: DD488100 00084352
	s_setvskip 0, 0                                            // 000000006058: BF108080
	s_setvskip s20, 2                                          // 00000000605C: BF108214
	global_atomic_pk_add_bf16 v84, v68, s[8:9]                 // 000000006060: DD488000 00084454
	s_setvskip 0, 0                                            // 000000006068: BF108080
	s_setvskip s20, 2                                          // 00000000606C: BF108214
	global_atomic_pk_add_bf16 v84, v69, s[8:9] offset:256      // 000000006070: DD488100 00084554
	s_setvskip 0, 0                                            // 000000006078: BF108080
	s_setvskip s20, 3                                          // 00000000607C: BF108314
	global_atomic_pk_add_bf16 v86, v70, s[8:9]                 // 000000006080: DD488000 00084656
	s_setvskip 0, 0                                            // 000000006088: BF108080
	s_setvskip s20, 3                                          // 00000000608C: BF108314
	global_atomic_pk_add_bf16 v86, v71, s[8:9] offset:256      // 000000006090: DD488100 00084756
	s_setvskip 0, 0                                            // 000000006098: BF108080
	s_add_u32 s8, s59, s8                                      // 00000000609C: 8008083B
	s_addc_u32 s9, 0, s9                                       // 0000000060A0: 82090980
	s_addk_i32 s80, 0x100                                      // 0000000060A4: B7500100
	s_cmp_lt_i32 s80, s81                                      // 0000000060A8: BF045150
	s_cbranch_scc0 label_0CAD                                  // 0000000060AC: BF840001
	s_branch label_07B4                                        // 0000000060B0: BF82FB07

00000000000060b4 <label_0CAD>:
	s_nop 0                                                    // 0000000060B4: BF800000
	s_nop 0                                                    // 0000000060B8: BF800000
	s_branch label_1671                                        // 0000000060BC: BF8209C1

00000000000060c0 <label_0CB0>:
	s_waitcnt vmcnt(28) lgkmcnt(0)                             // 0000000060C0: BF8C407C
	s_barrier                                                  // 0000000060C4: BF8A0000
	v_mfma_f32_16x16x128_f8f6f4 v[144:147], a[0:7], v[160:167], 0// 0000000060C8: D3AD0090 0A034100
	buffer_load_dwordx4 v[176:179], v31, s[20:23], 0 offen     // 0000000060D0: E05C1000 8005B01F
	buffer_load_dwordx4 v[180:183], v31, s[20:23], 0 offen offset:16// 0000000060D8: E05C1010 8005B41F
	buffer_load_dword v20, v11, s[32:35], 0 offen              // 0000000060E0: E0501000 8008140B
	buffer_load_dword v22, v13, s[32:35], 0 offen              // 0000000060E8: E0501000 8008160D
	buffer_load_dwordx4 a[128:131], v33, s[24:27], 0 offen     // 0000000060F0: E05C1000 80868021
	buffer_load_dwordx4 a[132:135], v33, s[24:27], 0 offen offset:1024// 0000000060F8: E05C1400 80868421
	buffer_load_dwordx4 a[136:139], v34, s[24:27], 0 offen     // 000000006100: E05C1000 80868822
	buffer_load_dwordx4 a[140:143], v34, s[24:27], 0 offen offset:1024// 000000006108: E05C1400 80868C22
	v_mfma_f32_16x16x128_f8f6f4 v[148:151], a[8:15], v[160:167], 0// 000000006110: D3AD0094 0A034108
	s_waitcnt vmcnt(20)                                        // 000000006118: BF8C4F74
	v_mfma_f32_16x16x128_f8f6f4 v[152:155], a[16:23], v[160:167], 0// 00000000611C: D3AD0098 0A034110
	buffer_load_dwordx4 a[144:147], v35, s[24:27], 0 offen     // 000000006124: E05C1000 80869023
	buffer_load_dwordx4 a[148:151], v35, s[24:27], 0 offen offset:1024// 00000000612C: E05C1400 80869423
	buffer_load_dwordx4 a[152:155], v36, s[24:27], 0 offen     // 000000006134: E05C1000 80869824
	buffer_load_dwordx4 a[156:159], v36, s[24:27], 0 offen offset:1024// 00000000613C: E05C1400 80869C24
	v_mfma_f32_16x16x128_f8f6f4 v[156:159], a[24:31], v[160:167], 0// 000000006144: D3AD009C 0A034118
	v_mul_f32_dpp v46, v19, v15 row_newbcast:0 row_mask:0xf bank_mask:0xf// 00000000614C: 0A5C1EFA FF015013
	v_mov_b32_e32 v47, v46                                     // 000000006154: 7E5E032E
	v_pk_fma_f32 v[128:129], v[144:145], v[46:47], v[128:129]  // 000000006158: D3B04080 1E025D90
	v_pk_fma_f32 v[130:131], v[146:147], v[46:47], v[130:131]  // 000000006160: D3B04082 1E0A5D92
	v_pk_fma_f32 v[132:133], v[148:149], v[46:47], v[132:133]  // 000000006168: D3B04084 1E125D94
	v_pk_fma_f32 v[134:135], v[150:151], v[46:47], v[134:135]  // 000000006170: D3B04086 1E1A5D96
	v_mul_f32_dpp v46, v19, v15 row_newbcast:1 row_mask:0xf bank_mask:0xf// 000000006178: 0A5C1EFA FF015113
	v_mov_b32_e32 v47, v46                                     // 000000006180: 7E5E032E
	v_pk_fma_f32 v[136:137], v[152:153], v[46:47], v[136:137]  // 000000006184: D3B04088 1E225D98
	v_pk_fma_f32 v[138:139], v[154:155], v[46:47], v[138:139]  // 00000000618C: D3B0408A 1E2A5D9A
	v_pk_fma_f32 v[140:141], v[156:157], v[46:47], v[140:141]  // 000000006194: D3B0408C 1E325D9C
	v_pk_fma_f32 v[142:143], v[158:159], v[46:47], v[142:143]  // 00000000619C: D3B0408E 1E3A5D9E
	s_waitcnt vmcnt(20)                                        // 0000000061A4: BF8C4F74
	v_mfma_f32_16x16x128_f8f6f4 v[144:147], a[32:39], v[168:175], 0// 0000000061A8: D3AD0090 0A035120
	buffer_load_dwordx4 a[160:163], v33, s[24:27], 0 offen offset:2048// 0000000061B0: E05C1800 8086A021
	buffer_load_dwordx4 a[164:167], v33, s[24:27], 0 offen offset:3072// 0000000061B8: E05C1C00 8086A421
	buffer_load_dwordx4 a[168:171], v34, s[24:27], 0 offen offset:2048// 0000000061C0: E05C1800 8086A822
	buffer_load_dwordx4 a[172:175], v34, s[24:27], 0 offen offset:3072// 0000000061C8: E05C1C00 8086AC22
	v_mfma_f32_16x16x128_f8f6f4 v[148:151], a[40:47], v[168:175], 0// 0000000061D0: D3AD0094 0A035128
	s_waitcnt vmcnt(20)                                        // 0000000061D8: BF8C4F74
	v_mfma_f32_16x16x128_f8f6f4 v[152:155], a[48:55], v[168:175], 0// 0000000061DC: D3AD0098 0A035130
	buffer_load_dwordx4 a[176:179], v35, s[24:27], 0 offen offset:2048// 0000000061E4: E05C1800 8086B023
	buffer_load_dwordx4 a[180:183], v35, s[24:27], 0 offen offset:3072// 0000000061EC: E05C1C00 8086B423
	buffer_load_dwordx4 a[184:187], v36, s[24:27], 0 offen offset:2048// 0000000061F4: E05C1800 8086B824
	buffer_load_dwordx4 a[188:191], v36, s[24:27], 0 offen offset:3072// 0000000061FC: E05C1C00 8086BC24
	v_mfma_f32_16x16x128_f8f6f4 v[156:159], a[56:63], v[168:175], 0// 000000006204: D3AD009C 0A035138
	v_mul_f32_dpp v46, v19, v16 row_newbcast:2 row_mask:0xf bank_mask:0xf// 00000000620C: 0A5C20FA FF015213
	v_mov_b32_e32 v47, v46                                     // 000000006214: 7E5E032E
	v_pk_fma_f32 v[128:129], v[144:145], v[46:47], v[128:129]  // 000000006218: D3B04080 1E025D90
	v_pk_fma_f32 v[130:131], v[146:147], v[46:47], v[130:131]  // 000000006220: D3B04082 1E0A5D92
	v_pk_fma_f32 v[132:133], v[148:149], v[46:47], v[132:133]  // 000000006228: D3B04084 1E125D94
	v_pk_fma_f32 v[134:135], v[150:151], v[46:47], v[134:135]  // 000000006230: D3B04086 1E1A5D96
	v_mul_f32_dpp v46, v19, v16 row_newbcast:3 row_mask:0xf bank_mask:0xf// 000000006238: 0A5C20FA FF015313
	v_mov_b32_e32 v47, v46                                     // 000000006240: 7E5E032E
	v_pk_fma_f32 v[136:137], v[152:153], v[46:47], v[136:137]  // 000000006244: D3B04088 1E225D98
	v_pk_fma_f32 v[138:139], v[154:155], v[46:47], v[138:139]  // 00000000624C: D3B0408A 1E2A5D9A
	v_pk_fma_f32 v[140:141], v[156:157], v[46:47], v[140:141]  // 000000006254: D3B0408C 1E325D9C
	v_pk_fma_f32 v[142:143], v[158:159], v[46:47], v[142:143]  // 00000000625C: D3B0408E 1E3A5D9E
	s_add_u32 s60, 0x200, s80                                  // 000000006264: 803C50FF 00000200
	s_cmp_lt_u32 s60, s81                                      // 00000000626C: BF0A513C
	s_cselect_b32 s4, s4, 0                                    // 000000006270: 85048004
	s_add_u32 s32, s4, s32                                     // 000000006274: 80202004
	s_addc_u32 s33, 0, s33                                     // 000000006278: 82212180
	s_waitcnt vmcnt(0)                                         // 00000000627C: BF8C0F70
	s_barrier                                                  // 000000006280: BF8A0000
	v_mfma_f32_16x16x128_f8f6f4 v[144:147], a[64:71], v[160:167], 0// 000000006284: D3AD0090 0A034140
	buffer_load_dwordx4 a[192:195], v33, s[92:95], 0 offen     // 00000000628C: E05C1000 8097C021
	buffer_load_dwordx4 a[196:199], v33, s[92:95], 0 offen offset:1024// 000000006294: E05C1400 8097C421
	buffer_load_dwordx4 a[200:203], v34, s[92:95], 0 offen     // 00000000629C: E05C1000 8097C822
	buffer_load_dwordx4 a[204:207], v34, s[92:95], 0 offen offset:1024// 0000000062A4: E05C1400 8097CC22
	v_mfma_f32_16x16x128_f8f6f4 v[148:151], a[72:79], v[160:167], 0// 0000000062AC: D3AD0094 0A034148
	s_waitcnt vmcnt(4)                                         // 0000000062B4: BF8C0F74
	v_mfma_f32_16x16x128_f8f6f4 v[152:155], a[80:87], v[160:167], 0// 0000000062B8: D3AD0098 0A034150
	buffer_load_dwordx4 a[208:211], v35, s[92:95], 0 offen     // 0000000062C0: E05C1000 8097D023
	buffer_load_dwordx4 a[212:215], v35, s[92:95], 0 offen offset:1024// 0000000062C8: E05C1400 8097D423
	buffer_load_dwordx4 a[216:219], v36, s[92:95], 0 offen     // 0000000062D0: E05C1000 8097D824
	buffer_load_dwordx4 a[220:223], v36, s[92:95], 0 offen offset:1024// 0000000062D8: E05C1400 8097DC24
	v_mfma_f32_16x16x128_f8f6f4 v[156:159], a[88:95], v[160:167], 0// 0000000062E0: D3AD009C 0A034158
	s_waitcnt vmcnt(8)                                         // 0000000062E8: BF8C0F78
	v_mov_b32_e32 v26, 0                                       // 0000000062EC: 7E340280
	v_lshlrev_b32_e32 v46, 16, v176                            // 0000000062F0: 245D6090
	v_and_b32_e32 v47, 0xffff0000, v176                        // 0000000062F4: 265F60FF FFFF0000
	v_max3_f32 v26, |v47|, |v46|, v26                          // 0000000062FC: D1D3031A 046A5D2F
	v_lshlrev_b32_e32 v46, 16, v177                            // 000000006304: 245D6290
	v_and_b32_e32 v47, 0xffff0000, v177                        // 000000006308: 265F62FF FFFF0000
	v_max3_f32 v26, |v47|, |v46|, v26                          // 000000006310: D1D3031A 046A5D2F
	v_lshlrev_b32_e32 v46, 16, v178                            // 000000006318: 245D6490
	v_and_b32_e32 v47, 0xffff0000, v178                        // 00000000631C: 265F64FF FFFF0000
	v_max3_f32 v26, |v47|, |v46|, v26                          // 000000006324: D1D3031A 046A5D2F
	v_lshlrev_b32_e32 v46, 16, v179                            // 00000000632C: 245D6690
	v_and_b32_e32 v47, 0xffff0000, v179                        // 000000006330: 265F66FF FFFF0000
	v_max3_f32 v26, |v47|, |v46|, v26                          // 000000006338: D1D3031A 046A5D2F
	v_lshlrev_b32_e32 v46, 16, v180                            // 000000006340: 245D6890
	v_and_b32_e32 v47, 0xffff0000, v180                        // 000000006344: 265F68FF FFFF0000
	v_max3_f32 v26, |v47|, |v46|, v26                          // 00000000634C: D1D3031A 046A5D2F
	v_lshlrev_b32_e32 v46, 16, v181                            // 000000006354: 245D6A90
	v_and_b32_e32 v47, 0xffff0000, v181                        // 000000006358: 265F6AFF FFFF0000
	v_max3_f32 v26, |v47|, |v46|, v26                          // 000000006360: D1D3031A 046A5D2F
	v_lshlrev_b32_e32 v46, 16, v182                            // 000000006368: 245D6C90
	v_and_b32_e32 v47, 0xffff0000, v182                        // 00000000636C: 265F6CFF FFFF0000
	v_max3_f32 v26, |v47|, |v46|, v26                          // 000000006374: D1D3031A 046A5D2F
	v_lshlrev_b32_e32 v46, 16, v183                            // 00000000637C: 245D6E90
	v_and_b32_e32 v47, 0xffff0000, v183                        // 000000006380: 265F6EFF FFFF0000
	v_max3_f32 v26, |v47|, |v46|, v26                          // 000000006388: D1D3031A 046A5D2F
	s_barrier                                                  // 000000006390: BF8A0000
	v_max_f32_dpp v27, v26, v26 quad_perm:[1,2,3,0] row_mask:0xf bank_mask:0xf// 000000006394: 163634FA FF00391A
	s_nop 1                                                    // 00000000639C: BF800001
	v_max_f32_dpp v46, v27, v27 quad_perm:[2,3,0,1] row_mask:0xf bank_mask:0xf// 0000000063A0: 165C36FA FF004E1B
	s_nop 1                                                    // 0000000063A8: BF800001
	v_max_f32_dpp v26, v46, v46 row_half_mirror row_mask:0xf bank_mask:0xf// 0000000063AC: 16345CFA FF01412E
	v_rcp_f32_e32 v46, v26                                     // 0000000063B4: 7E5C451A
	v_mov_b32_e32 v47, 0x43e00000                              // 0000000063B8: 7E5E02FF 43E00000
	v_mul_f32_e32 v27, v47, v46                                // 0000000063C0: 0A365D2F
	v_mov_b32_e32 v26, v27                                     // 0000000063C4: 7E34031B
	v_lshlrev_b32_e32 v46, 16, v176                            // 0000000063C8: 245D6090
	v_and_b32_e32 v47, 0xffff0000, v176                        // 0000000063CC: 265F60FF FFFF0000
	v_pk_mul_f32 v[46:47], v[46:47], v[26:27]                  // 0000000063D4: D3B1402E 1802352E
	v_cvt_pk_fp8_f32 v176, v46, v47                            // 0000000063DC: D2A200B0 00025F2E
	v_lshlrev_b32_e32 v46, 16, v177                            // 0000000063E4: 245D6290
	v_and_b32_e32 v47, 0xffff0000, v177                        // 0000000063E8: 265F62FF FFFF0000
	v_pk_mul_f32 v[46:47], v[46:47], v[26:27]                  // 0000000063F0: D3B1402E 1802352E
	v_cvt_pk_fp8_f32 v176, v46, v47 op_sel:[0,0,1]             // 0000000063F8: D2A240B0 00025F2E
	v_lshlrev_b32_e32 v46, 16, v178                            // 000000006400: 245D6490
	v_and_b32_e32 v47, 0xffff0000, v178                        // 000000006404: 265F64FF FFFF0000
	v_pk_mul_f32 v[46:47], v[46:47], v[26:27]                  // 00000000640C: D3B1402E 1802352E
	v_cvt_pk_fp8_f32 v177, v46, v47                            // 000000006414: D2A200B1 00025F2E
	v_lshlrev_b32_e32 v46, 16, v179                            // 00000000641C: 245D6690
	v_and_b32_e32 v47, 0xffff0000, v179                        // 000000006420: 265F66FF FFFF0000
	v_pk_mul_f32 v[46:47], v[46:47], v[26:27]                  // 000000006428: D3B1402E 1802352E
	v_cvt_pk_fp8_f32 v177, v46, v47 op_sel:[0,0,1]             // 000000006430: D2A240B1 00025F2E
	v_lshlrev_b32_e32 v46, 16, v180                            // 000000006438: 245D6890
	v_and_b32_e32 v47, 0xffff0000, v180                        // 00000000643C: 265F68FF FFFF0000
	v_pk_mul_f32 v[46:47], v[46:47], v[26:27]                  // 000000006444: D3B1402E 1802352E
	v_cvt_pk_fp8_f32 v178, v46, v47                            // 00000000644C: D2A200B2 00025F2E
	v_lshlrev_b32_e32 v46, 16, v181                            // 000000006454: 245D6A90
	v_and_b32_e32 v47, 0xffff0000, v181                        // 000000006458: 265F6AFF FFFF0000
	v_pk_mul_f32 v[46:47], v[46:47], v[26:27]                  // 000000006460: D3B1402E 1802352E
	v_cvt_pk_fp8_f32 v178, v46, v47 op_sel:[0,0,1]             // 000000006468: D2A240B2 00025F2E
	v_lshlrev_b32_e32 v46, 16, v182                            // 000000006470: 245D6C90
	v_and_b32_e32 v47, 0xffff0000, v182                        // 000000006474: 265F6CFF FFFF0000
	v_pk_mul_f32 v[46:47], v[46:47], v[26:27]                  // 00000000647C: D3B1402E 1802352E
	v_cvt_pk_fp8_f32 v179, v46, v47                            // 000000006484: D2A200B3 00025F2E
	v_lshlrev_b32_e32 v46, 16, v183                            // 00000000648C: 245D6E90
	v_and_b32_e32 v47, 0xffff0000, v183                        // 000000006490: 265F6EFF FFFF0000
	v_pk_mul_f32 v[46:47], v[46:47], v[26:27]                  // 000000006498: D3B1402E 1802352E
	v_cvt_pk_fp8_f32 v179, v46, v47 op_sel:[0,0,1]             // 0000000064A0: D2A240B3 00025F2E
	v_lshlrev_b32_e32 v46, 4, v0                               // 0000000064A8: 245C0084
	v_add_u32_e64 v46, v46, s51                                // 0000000064AC: D134002E 0000672E
	ds_write_b128 v46, v[176:179]                              // 0000000064B4: D9BE0000 0000B02E
	v_rcp_f32_e32 v28, v27                                     // 0000000064BC: 7E38451B
	v_add_u32_e32 v46, 0, v30                                  // 0000000064C0: 685C3C80
	s_mov_b64 s[60:61], exec                                   // 0000000064C4: BEBC017E
	s_mov_b32 s62, 0xf0f0f0f                                   // 0000000064C8: BEBE00FF 0F0F0F0F
	s_mov_b32 s63, 0xf0f0f0f                                   // 0000000064D0: BEBF00FF 0F0F0F0F
	s_mov_b64 exec, s[62:63]                                   // 0000000064D8: BEFE013E
	ds_write_b32 v46, v28 offset:9728                          // 0000000064DC: D81A2600 00001C2E
	s_mov_b64 exec, s[60:61]                                   // 0000000064E4: BEFE013C
	v_mul_f32_dpp v46, v21, v15 row_newbcast:0 row_mask:0xf bank_mask:0xf// 0000000064E8: 0A5C1EFA FF015015
	v_mov_b32_e32 v47, v46                                     // 0000000064F0: 7E5E032E
	v_pk_fma_f32 v[64:65], v[144:145], v[46:47], v[64:65]      // 0000000064F4: D3B04040 1D025D90
	v_pk_fma_f32 v[66:67], v[146:147], v[46:47], v[66:67]      // 0000000064FC: D3B04042 1D0A5D92
	v_pk_fma_f32 v[68:69], v[148:149], v[46:47], v[68:69]      // 000000006504: D3B04044 1D125D94
	v_pk_fma_f32 v[70:71], v[150:151], v[46:47], v[70:71]      // 00000000650C: D3B04046 1D1A5D96
	v_mul_f32_dpp v46, v21, v15 row_newbcast:1 row_mask:0xf bank_mask:0xf// 000000006514: 0A5C1EFA FF015115
	v_mov_b32_e32 v47, v46                                     // 00000000651C: 7E5E032E
	v_pk_fma_f32 v[72:73], v[152:153], v[46:47], v[72:73]      // 000000006520: D3B04048 1D225D98
	v_pk_fma_f32 v[74:75], v[154:155], v[46:47], v[74:75]      // 000000006528: D3B0404A 1D2A5D9A
	v_pk_fma_f32 v[76:77], v[156:157], v[46:47], v[76:77]      // 000000006530: D3B0404C 1D325D9C
	v_pk_fma_f32 v[78:79], v[158:159], v[46:47], v[78:79]      // 000000006538: D3B0404E 1D3A5D9E
	s_waitcnt vmcnt(4)                                         // 000000006540: BF8C0F74
	v_mfma_f32_16x16x128_f8f6f4 v[144:147], a[96:103], v[168:175], 0// 000000006544: D3AD0090 0A035160
	buffer_load_dwordx4 a[224:227], v33, s[92:95], 0 offen offset:2048// 00000000654C: E05C1800 8097E021
	buffer_load_dwordx4 a[228:231], v33, s[92:95], 0 offen offset:3072// 000000006554: E05C1C00 8097E421
	buffer_load_dwordx4 a[232:235], v34, s[92:95], 0 offen offset:2048// 00000000655C: E05C1800 8097E822
	buffer_load_dwordx4 a[236:239], v34, s[92:95], 0 offen offset:3072// 000000006564: E05C1C00 8097EC22
	v_mfma_f32_16x16x128_f8f6f4 v[148:151], a[104:111], v[168:175], 0// 00000000656C: D3AD0094 0A035168
	s_waitcnt lgkmcnt(0)                                       // 000000006574: BF8CC07F
	s_barrier                                                  // 000000006578: BF8A0000
	ds_read_b128 v[176:179], v2 offset:5376                    // 00000000657C: D9FE1500 B0000002
	ds_read_b128 v[180:183], v2 offset:5440                    // 000000006584: D9FE1540 B4000002
	ds_read_b32 v17, v3 offset:9728                            // 00000000658C: D86C2600 11000003
	s_waitcnt vmcnt(4)                                         // 000000006594: BF8C0F74
	v_mfma_f32_16x16x128_f8f6f4 v[152:155], a[112:119], v[168:175], 0// 000000006598: D3AD0098 0A035170
	buffer_load_dwordx4 a[240:243], v35, s[92:95], 0 offen offset:2048// 0000000065A0: E05C1800 8097F023
	buffer_load_dwordx4 a[244:247], v35, s[92:95], 0 offen offset:3072// 0000000065A8: E05C1C00 8097F423
	buffer_load_dwordx4 a[248:251], v36, s[92:95], 0 offen offset:2048// 0000000065B0: E05C1800 8097F824
	buffer_load_dwordx4 a[252:255], v36, s[92:95], 0 offen offset:3072// 0000000065B8: E05C1C00 8097FC24
	v_mfma_f32_16x16x128_f8f6f4 v[156:159], a[120:127], v[168:175], 0// 0000000065C0: D3AD009C 0A035178
	ds_read_b128 v[184:187], v2 offset:5888                    // 0000000065C8: D9FE1700 B8000002
	ds_read_b128 v[188:191], v2 offset:5952                    // 0000000065D0: D9FE1740 BC000002
	ds_read_b32 v18, v3 offset:9984                            // 0000000065D8: D86C2700 12000003
	v_mul_f32_dpp v46, v21, v16 row_newbcast:2 row_mask:0xf bank_mask:0xf// 0000000065E0: 0A5C20FA FF015215
	v_mov_b32_e32 v47, v46                                     // 0000000065E8: 7E5E032E
	v_pk_fma_f32 v[64:65], v[144:145], v[46:47], v[64:65]      // 0000000065EC: D3B04040 1D025D90
	v_pk_fma_f32 v[66:67], v[146:147], v[46:47], v[66:67]      // 0000000065F4: D3B04042 1D0A5D92
	v_pk_fma_f32 v[68:69], v[148:149], v[46:47], v[68:69]      // 0000000065FC: D3B04044 1D125D94
	v_pk_fma_f32 v[70:71], v[150:151], v[46:47], v[70:71]      // 000000006604: D3B04046 1D1A5D96
	v_mul_f32_dpp v46, v21, v16 row_newbcast:3 row_mask:0xf bank_mask:0xf// 00000000660C: 0A5C20FA FF015315
	v_mov_b32_e32 v47, v46                                     // 000000006614: 7E5E032E
	v_pk_fma_f32 v[72:73], v[152:153], v[46:47], v[72:73]      // 000000006618: D3B04048 1D225D98
	v_pk_fma_f32 v[74:75], v[154:155], v[46:47], v[74:75]      // 000000006620: D3B0404A 1D2A5D9A
	v_pk_fma_f32 v[76:77], v[156:157], v[46:47], v[76:77]      // 000000006628: D3B0404C 1D325D9C
	v_pk_fma_f32 v[78:79], v[158:159], v[46:47], v[78:79]      // 000000006630: D3B0404E 1D3A5D9E
	s_add_u32 s60, 0x200, s80                                  // 000000006638: 803C50FF 00000200
	s_cmp_lt_u32 s60, s81                                      // 000000006640: BF0A513C
	s_cselect_b32 s57, s57, 0                                  // 000000006644: 85398039
	s_add_u32 s60, 0x200, s80                                  // 000000006648: 803C50FF 00000200
	s_cmp_lt_u32 s60, s81                                      // 000000006650: BF0A513C
	s_cselect_b32 s58, s58, 0                                  // 000000006654: 853A803A
	s_cselect_b32 s90, s90, 0                                  // 000000006658: 855A805A
	s_add_u32 s20, s57, s20                                    // 00000000665C: 80141439
	s_addc_u32 s21, 0, s21                                     // 000000006660: 82151580
	s_add_u32 s24, s58, s24                                    // 000000006664: 8018183A
	s_addc_u32 s25, 0, s25                                     // 000000006668: 82191980
	s_add_u32 s92, s90, s92                                    // 00000000666C: 805C5C5A
	s_addc_u32 s93, 0, s93                                     // 000000006670: 825D5D80
	s_addk_i32 s80, 0x100                                      // 000000006674: B7500100
	s_cmp_lt_i32 s80, s81                                      // 000000006678: BF045150
	s_cbranch_scc0 label_0F91                                  // 00000000667C: BF840171
	s_waitcnt vmcnt(28) lgkmcnt(0)                             // 000000006680: BF8C407C
	s_barrier                                                  // 000000006684: BF8A0000
	v_mfma_f32_16x16x128_f8f6f4 v[144:147], a[128:135], v[176:183], 0// 000000006688: D3AD0090 0A036180
	buffer_load_dwordx4 v[160:163], v31, s[20:23], 0 offen     // 000000006690: E05C1000 8005A01F
	buffer_load_dwordx4 v[164:167], v31, s[20:23], 0 offen offset:16// 000000006698: E05C1010 8005A41F
	buffer_load_dword v19, v11, s[32:35], 0 offen              // 0000000066A0: E0501000 8008130B
	buffer_load_dword v21, v13, s[32:35], 0 offen              // 0000000066A8: E0501000 8008150D
	buffer_load_dwordx4 a[0:3], v33, s[24:27], 0 offen         // 0000000066B0: E05C1000 80860021
	buffer_load_dwordx4 a[4:7], v33, s[24:27], 0 offen offset:1024// 0000000066B8: E05C1400 80860421
	buffer_load_dwordx4 a[8:11], v34, s[24:27], 0 offen        // 0000000066C0: E05C1000 80860822
	buffer_load_dwordx4 a[12:15], v34, s[24:27], 0 offen offset:1024// 0000000066C8: E05C1400 80860C22
	v_mfma_f32_16x16x128_f8f6f4 v[148:151], a[136:143], v[176:183], 0// 0000000066D0: D3AD0094 0A036188
	s_waitcnt vmcnt(20)                                        // 0000000066D8: BF8C4F74
	v_mfma_f32_16x16x128_f8f6f4 v[152:155], a[144:151], v[176:183], 0// 0000000066DC: D3AD0098 0A036190
	buffer_load_dwordx4 a[16:19], v35, s[24:27], 0 offen       // 0000000066E4: E05C1000 80861023
	buffer_load_dwordx4 a[20:23], v35, s[24:27], 0 offen offset:1024// 0000000066EC: E05C1400 80861423
	buffer_load_dwordx4 a[24:27], v36, s[24:27], 0 offen       // 0000000066F4: E05C1000 80861824
	buffer_load_dwordx4 a[28:31], v36, s[24:27], 0 offen offset:1024// 0000000066FC: E05C1400 80861C24
	v_mfma_f32_16x16x128_f8f6f4 v[156:159], a[152:159], v[176:183], 0// 000000006704: D3AD009C 0A036198
	v_mul_f32_dpp v46, v20, v17 row_newbcast:0 row_mask:0xf bank_mask:0xf// 00000000670C: 0A5C22FA FF015014
	v_mov_b32_e32 v47, v46                                     // 000000006714: 7E5E032E
	v_pk_fma_f32 v[128:129], v[144:145], v[46:47], v[128:129]  // 000000006718: D3B04080 1E025D90
	v_pk_fma_f32 v[130:131], v[146:147], v[46:47], v[130:131]  // 000000006720: D3B04082 1E0A5D92
	v_pk_fma_f32 v[132:133], v[148:149], v[46:47], v[132:133]  // 000000006728: D3B04084 1E125D94
	v_pk_fma_f32 v[134:135], v[150:151], v[46:47], v[134:135]  // 000000006730: D3B04086 1E1A5D96
	v_mul_f32_dpp v46, v20, v17 row_newbcast:1 row_mask:0xf bank_mask:0xf// 000000006738: 0A5C22FA FF015114
	v_mov_b32_e32 v47, v46                                     // 000000006740: 7E5E032E
	v_pk_fma_f32 v[136:137], v[152:153], v[46:47], v[136:137]  // 000000006744: D3B04088 1E225D98
	v_pk_fma_f32 v[138:139], v[154:155], v[46:47], v[138:139]  // 00000000674C: D3B0408A 1E2A5D9A
	v_pk_fma_f32 v[140:141], v[156:157], v[46:47], v[140:141]  // 000000006754: D3B0408C 1E325D9C
	v_pk_fma_f32 v[142:143], v[158:159], v[46:47], v[142:143]  // 00000000675C: D3B0408E 1E3A5D9E
	s_waitcnt vmcnt(20)                                        // 000000006764: BF8C4F74
	v_mfma_f32_16x16x128_f8f6f4 v[144:147], a[160:167], v[184:191], 0// 000000006768: D3AD0090 0A0371A0
	buffer_load_dwordx4 a[32:35], v33, s[24:27], 0 offen offset:2048// 000000006770: E05C1800 80862021
	buffer_load_dwordx4 a[36:39], v33, s[24:27], 0 offen offset:3072// 000000006778: E05C1C00 80862421
	buffer_load_dwordx4 a[40:43], v34, s[24:27], 0 offen offset:2048// 000000006780: E05C1800 80862822
	buffer_load_dwordx4 a[44:47], v34, s[24:27], 0 offen offset:3072// 000000006788: E05C1C00 80862C22
	v_mfma_f32_16x16x128_f8f6f4 v[148:151], a[168:175], v[184:191], 0// 000000006790: D3AD0094 0A0371A8
	s_waitcnt vmcnt(20)                                        // 000000006798: BF8C4F74
	v_mfma_f32_16x16x128_f8f6f4 v[152:155], a[176:183], v[184:191], 0// 00000000679C: D3AD0098 0A0371B0
	buffer_load_dwordx4 a[48:51], v35, s[24:27], 0 offen offset:2048// 0000000067A4: E05C1800 80863023
	buffer_load_dwordx4 a[52:55], v35, s[24:27], 0 offen offset:3072// 0000000067AC: E05C1C00 80863423
	buffer_load_dwordx4 a[56:59], v36, s[24:27], 0 offen offset:2048// 0000000067B4: E05C1800 80863824
	buffer_load_dwordx4 a[60:63], v36, s[24:27], 0 offen offset:3072// 0000000067BC: E05C1C00 80863C24
	v_mfma_f32_16x16x128_f8f6f4 v[156:159], a[184:191], v[184:191], 0// 0000000067C4: D3AD009C 0A0371B8
	v_mul_f32_dpp v46, v20, v18 row_newbcast:2 row_mask:0xf bank_mask:0xf// 0000000067CC: 0A5C24FA FF015214
	v_mov_b32_e32 v47, v46                                     // 0000000067D4: 7E5E032E
	v_pk_fma_f32 v[128:129], v[144:145], v[46:47], v[128:129]  // 0000000067D8: D3B04080 1E025D90
	v_pk_fma_f32 v[130:131], v[146:147], v[46:47], v[130:131]  // 0000000067E0: D3B04082 1E0A5D92
	v_pk_fma_f32 v[132:133], v[148:149], v[46:47], v[132:133]  // 0000000067E8: D3B04084 1E125D94
	v_pk_fma_f32 v[134:135], v[150:151], v[46:47], v[134:135]  // 0000000067F0: D3B04086 1E1A5D96
	v_mul_f32_dpp v46, v20, v18 row_newbcast:3 row_mask:0xf bank_mask:0xf// 0000000067F8: 0A5C24FA FF015314
	v_mov_b32_e32 v47, v46                                     // 000000006800: 7E5E032E
	v_pk_fma_f32 v[136:137], v[152:153], v[46:47], v[136:137]  // 000000006804: D3B04088 1E225D98
	v_pk_fma_f32 v[138:139], v[154:155], v[46:47], v[138:139]  // 00000000680C: D3B0408A 1E2A5D9A
	v_pk_fma_f32 v[140:141], v[156:157], v[46:47], v[140:141]  // 000000006814: D3B0408C 1E325D9C
	v_pk_fma_f32 v[142:143], v[158:159], v[46:47], v[142:143]  // 00000000681C: D3B0408E 1E3A5D9E
	s_add_u32 s60, 0x200, s80                                  // 000000006824: 803C50FF 00000200
	s_cmp_lt_u32 s60, s81                                      // 00000000682C: BF0A513C
	s_cselect_b32 s4, s4, 0                                    // 000000006830: 85048004
	s_add_u32 s32, s4, s32                                     // 000000006834: 80202004
	s_addc_u32 s33, 0, s33                                     // 000000006838: 82212180
	s_waitcnt vmcnt(0)                                         // 00000000683C: BF8C0F70
	s_barrier                                                  // 000000006840: BF8A0000
	v_mfma_f32_16x16x128_f8f6f4 v[144:147], a[192:199], v[176:183], 0// 000000006844: D3AD0090 0A0361C0
	buffer_load_dwordx4 a[64:67], v33, s[92:95], 0 offen       // 00000000684C: E05C1000 80974021
	buffer_load_dwordx4 a[68:71], v33, s[92:95], 0 offen offset:1024// 000000006854: E05C1400 80974421
	buffer_load_dwordx4 a[72:75], v34, s[92:95], 0 offen       // 00000000685C: E05C1000 80974822
	buffer_load_dwordx4 a[76:79], v34, s[92:95], 0 offen offset:1024// 000000006864: E05C1400 80974C22
	v_mfma_f32_16x16x128_f8f6f4 v[148:151], a[200:207], v[176:183], 0// 00000000686C: D3AD0094 0A0361C8
	s_waitcnt vmcnt(4)                                         // 000000006874: BF8C0F74
	v_mfma_f32_16x16x128_f8f6f4 v[152:155], a[208:215], v[176:183], 0// 000000006878: D3AD0098 0A0361D0
	buffer_load_dwordx4 a[80:83], v35, s[92:95], 0 offen       // 000000006880: E05C1000 80975023
	buffer_load_dwordx4 a[84:87], v35, s[92:95], 0 offen offset:1024// 000000006888: E05C1400 80975423
	buffer_load_dwordx4 a[88:91], v36, s[92:95], 0 offen       // 000000006890: E05C1000 80975824
	buffer_load_dwordx4 a[92:95], v36, s[92:95], 0 offen offset:1024// 000000006898: E05C1400 80975C24
	v_mfma_f32_16x16x128_f8f6f4 v[156:159], a[216:223], v[176:183], 0// 0000000068A0: D3AD009C 0A0361D8
	s_waitcnt vmcnt(8)                                         // 0000000068A8: BF8C0F78
	v_mov_b32_e32 v26, 0                                       // 0000000068AC: 7E340280
	v_lshlrev_b32_e32 v46, 16, v160                            // 0000000068B0: 245D4090
	v_and_b32_e32 v47, 0xffff0000, v160                        // 0000000068B4: 265F40FF FFFF0000
	v_max3_f32 v26, |v47|, |v46|, v26                          // 0000000068BC: D1D3031A 046A5D2F
	v_lshlrev_b32_e32 v46, 16, v161                            // 0000000068C4: 245D4290
	v_and_b32_e32 v47, 0xffff0000, v161                        // 0000000068C8: 265F42FF FFFF0000
	v_max3_f32 v26, |v47|, |v46|, v26                          // 0000000068D0: D1D3031A 046A5D2F
	v_lshlrev_b32_e32 v46, 16, v162                            // 0000000068D8: 245D4490
	v_and_b32_e32 v47, 0xffff0000, v162                        // 0000000068DC: 265F44FF FFFF0000
	v_max3_f32 v26, |v47|, |v46|, v26                          // 0000000068E4: D1D3031A 046A5D2F
	v_lshlrev_b32_e32 v46, 16, v163                            // 0000000068EC: 245D4690
	v_and_b32_e32 v47, 0xffff0000, v163                        // 0000000068F0: 265F46FF FFFF0000
	v_max3_f32 v26, |v47|, |v46|, v26                          // 0000000068F8: D1D3031A 046A5D2F
	v_lshlrev_b32_e32 v46, 16, v164                            // 000000006900: 245D4890
	v_and_b32_e32 v47, 0xffff0000, v164                        // 000000006904: 265F48FF FFFF0000
	v_max3_f32 v26, |v47|, |v46|, v26                          // 00000000690C: D1D3031A 046A5D2F
	v_lshlrev_b32_e32 v46, 16, v165                            // 000000006914: 245D4A90
	v_and_b32_e32 v47, 0xffff0000, v165                        // 000000006918: 265F4AFF FFFF0000
	v_max3_f32 v26, |v47|, |v46|, v26                          // 000000006920: D1D3031A 046A5D2F
	v_lshlrev_b32_e32 v46, 16, v166                            // 000000006928: 245D4C90
	v_and_b32_e32 v47, 0xffff0000, v166                        // 00000000692C: 265F4CFF FFFF0000
	v_max3_f32 v26, |v47|, |v46|, v26                          // 000000006934: D1D3031A 046A5D2F
	v_lshlrev_b32_e32 v46, 16, v167                            // 00000000693C: 245D4E90
	v_and_b32_e32 v47, 0xffff0000, v167                        // 000000006940: 265F4EFF FFFF0000
	v_max3_f32 v26, |v47|, |v46|, v26                          // 000000006948: D1D3031A 046A5D2F
	s_barrier                                                  // 000000006950: BF8A0000
	v_max_f32_dpp v27, v26, v26 quad_perm:[1,2,3,0] row_mask:0xf bank_mask:0xf// 000000006954: 163634FA FF00391A
	s_nop 1                                                    // 00000000695C: BF800001
	v_max_f32_dpp v46, v27, v27 quad_perm:[2,3,0,1] row_mask:0xf bank_mask:0xf// 000000006960: 165C36FA FF004E1B
	s_nop 1                                                    // 000000006968: BF800001
	v_max_f32_dpp v26, v46, v46 row_half_mirror row_mask:0xf bank_mask:0xf// 00000000696C: 16345CFA FF01412E
	v_rcp_f32_e32 v46, v26                                     // 000000006974: 7E5C451A
	v_mov_b32_e32 v47, 0x43e00000                              // 000000006978: 7E5E02FF 43E00000
	v_mul_f32_e32 v27, v47, v46                                // 000000006980: 0A365D2F
	v_mov_b32_e32 v26, v27                                     // 000000006984: 7E34031B
	v_lshlrev_b32_e32 v46, 16, v160                            // 000000006988: 245D4090
	v_and_b32_e32 v47, 0xffff0000, v160                        // 00000000698C: 265F40FF FFFF0000
	v_pk_mul_f32 v[46:47], v[46:47], v[26:27]                  // 000000006994: D3B1402E 1802352E
	v_cvt_pk_fp8_f32 v160, v46, v47                            // 00000000699C: D2A200A0 00025F2E
	v_lshlrev_b32_e32 v46, 16, v161                            // 0000000069A4: 245D4290
	v_and_b32_e32 v47, 0xffff0000, v161                        // 0000000069A8: 265F42FF FFFF0000
	v_pk_mul_f32 v[46:47], v[46:47], v[26:27]                  // 0000000069B0: D3B1402E 1802352E
	v_cvt_pk_fp8_f32 v160, v46, v47 op_sel:[0,0,1]             // 0000000069B8: D2A240A0 00025F2E
	v_lshlrev_b32_e32 v46, 16, v162                            // 0000000069C0: 245D4490
	v_and_b32_e32 v47, 0xffff0000, v162                        // 0000000069C4: 265F44FF FFFF0000
	v_pk_mul_f32 v[46:47], v[46:47], v[26:27]                  // 0000000069CC: D3B1402E 1802352E
	v_cvt_pk_fp8_f32 v161, v46, v47                            // 0000000069D4: D2A200A1 00025F2E
	v_lshlrev_b32_e32 v46, 16, v163                            // 0000000069DC: 245D4690
	v_and_b32_e32 v47, 0xffff0000, v163                        // 0000000069E0: 265F46FF FFFF0000
	v_pk_mul_f32 v[46:47], v[46:47], v[26:27]                  // 0000000069E8: D3B1402E 1802352E
	v_cvt_pk_fp8_f32 v161, v46, v47 op_sel:[0,0,1]             // 0000000069F0: D2A240A1 00025F2E
	v_lshlrev_b32_e32 v46, 16, v164                            // 0000000069F8: 245D4890
	v_and_b32_e32 v47, 0xffff0000, v164                        // 0000000069FC: 265F48FF FFFF0000
	v_pk_mul_f32 v[46:47], v[46:47], v[26:27]                  // 000000006A04: D3B1402E 1802352E
	v_cvt_pk_fp8_f32 v162, v46, v47                            // 000000006A0C: D2A200A2 00025F2E
	v_lshlrev_b32_e32 v46, 16, v165                            // 000000006A14: 245D4A90
	v_and_b32_e32 v47, 0xffff0000, v165                        // 000000006A18: 265F4AFF FFFF0000
	v_pk_mul_f32 v[46:47], v[46:47], v[26:27]                  // 000000006A20: D3B1402E 1802352E
	v_cvt_pk_fp8_f32 v162, v46, v47 op_sel:[0,0,1]             // 000000006A28: D2A240A2 00025F2E
	v_lshlrev_b32_e32 v46, 16, v166                            // 000000006A30: 245D4C90
	v_and_b32_e32 v47, 0xffff0000, v166                        // 000000006A34: 265F4CFF FFFF0000
	v_pk_mul_f32 v[46:47], v[46:47], v[26:27]                  // 000000006A3C: D3B1402E 1802352E
	v_cvt_pk_fp8_f32 v163, v46, v47                            // 000000006A44: D2A200A3 00025F2E
	v_lshlrev_b32_e32 v46, 16, v167                            // 000000006A4C: 245D4E90
	v_and_b32_e32 v47, 0xffff0000, v167                        // 000000006A50: 265F4EFF FFFF0000
	v_pk_mul_f32 v[46:47], v[46:47], v[26:27]                  // 000000006A58: D3B1402E 1802352E
	v_cvt_pk_fp8_f32 v163, v46, v47 op_sel:[0,0,1]             // 000000006A60: D2A240A3 00025F2E
	v_lshlrev_b32_e32 v46, 4, v0                               // 000000006A68: 245C0084
	v_add_u32_e64 v46, v46, s50                                // 000000006A6C: D134002E 0000652E
	ds_write_b128 v46, v[160:163]                              // 000000006A74: D9BE0000 0000A02E
	v_rcp_f32_e32 v28, v27                                     // 000000006A7C: 7E38451B
	v_add_u32_e32 v46, 0, v30                                  // 000000006A80: 685C3C80
	s_mov_b64 s[60:61], exec                                   // 000000006A84: BEBC017E
	s_mov_b32 s62, 0xf0f0f0f                                   // 000000006A88: BEBE00FF 0F0F0F0F
	s_mov_b32 s63, 0xf0f0f0f                                   // 000000006A90: BEBF00FF 0F0F0F0F
	s_mov_b64 exec, s[62:63]                                   // 000000006A98: BEFE013E
	ds_write_b32 v46, v28 offset:4352                          // 000000006A9C: D81A1100 00001C2E
	s_mov_b64 exec, s[60:61]                                   // 000000006AA4: BEFE013C
	v_mul_f32_dpp v46, v22, v17 row_newbcast:0 row_mask:0xf bank_mask:0xf// 000000006AA8: 0A5C22FA FF015016
	v_mov_b32_e32 v47, v46                                     // 000000006AB0: 7E5E032E
	v_pk_fma_f32 v[64:65], v[144:145], v[46:47], v[64:65]      // 000000006AB4: D3B04040 1D025D90
	v_pk_fma_f32 v[66:67], v[146:147], v[46:47], v[66:67]      // 000000006ABC: D3B04042 1D0A5D92
	v_pk_fma_f32 v[68:69], v[148:149], v[46:47], v[68:69]      // 000000006AC4: D3B04044 1D125D94
	v_pk_fma_f32 v[70:71], v[150:151], v[46:47], v[70:71]      // 000000006ACC: D3B04046 1D1A5D96
	v_mul_f32_dpp v46, v22, v17 row_newbcast:1 row_mask:0xf bank_mask:0xf// 000000006AD4: 0A5C22FA FF015116
	v_mov_b32_e32 v47, v46                                     // 000000006ADC: 7E5E032E
	v_pk_fma_f32 v[72:73], v[152:153], v[46:47], v[72:73]      // 000000006AE0: D3B04048 1D225D98
	v_pk_fma_f32 v[74:75], v[154:155], v[46:47], v[74:75]      // 000000006AE8: D3B0404A 1D2A5D9A
	v_pk_fma_f32 v[76:77], v[156:157], v[46:47], v[76:77]      // 000000006AF0: D3B0404C 1D325D9C
	v_pk_fma_f32 v[78:79], v[158:159], v[46:47], v[78:79]      // 000000006AF8: D3B0404E 1D3A5D9E
	s_waitcnt vmcnt(4)                                         // 000000006B00: BF8C0F74
	v_mfma_f32_16x16x128_f8f6f4 v[144:147], a[224:231], v[184:191], 0// 000000006B04: D3AD0090 0A0371E0
	buffer_load_dwordx4 a[96:99], v33, s[92:95], 0 offen offset:2048// 000000006B0C: E05C1800 80976021
	buffer_load_dwordx4 a[100:103], v33, s[92:95], 0 offen offset:3072// 000000006B14: E05C1C00 80976421
	buffer_load_dwordx4 a[104:107], v34, s[92:95], 0 offen offset:2048// 000000006B1C: E05C1800 80976822
	buffer_load_dwordx4 a[108:111], v34, s[92:95], 0 offen offset:3072// 000000006B24: E05C1C00 80976C22
	v_mfma_f32_16x16x128_f8f6f4 v[148:151], a[232:239], v[184:191], 0// 000000006B2C: D3AD0094 0A0371E8
	s_waitcnt lgkmcnt(0)                                       // 000000006B34: BF8CC07F
	s_barrier                                                  // 000000006B38: BF8A0000
	ds_read_b128 v[160:163], v2                                // 000000006B3C: D9FE0000 A0000002
	ds_read_b128 v[164:167], v2 offset:64                      // 000000006B44: D9FE0040 A4000002
	ds_read_b32 v15, v3 offset:4352                            // 000000006B4C: D86C1100 0F000003
	s_waitcnt vmcnt(4)                                         // 000000006B54: BF8C0F74
	v_mfma_f32_16x16x128_f8f6f4 v[152:155], a[240:247], v[184:191], 0// 000000006B58: D3AD0098 0A0371F0
	buffer_load_dwordx4 a[112:115], v35, s[92:95], 0 offen offset:2048// 000000006B60: E05C1800 80977023
	buffer_load_dwordx4 a[116:119], v35, s[92:95], 0 offen offset:3072// 000000006B68: E05C1C00 80977423
	buffer_load_dwordx4 a[120:123], v36, s[92:95], 0 offen offset:2048// 000000006B70: E05C1800 80977824
	buffer_load_dwordx4 a[124:127], v36, s[92:95], 0 offen offset:3072// 000000006B78: E05C1C00 80977C24
	v_mfma_f32_16x16x128_f8f6f4 v[156:159], a[248:255], v[184:191], 0// 000000006B80: D3AD009C 0A0371F8
	ds_read_b128 v[168:171], v2 offset:512                     // 000000006B88: D9FE0200 A8000002
	ds_read_b128 v[172:175], v2 offset:576                     // 000000006B90: D9FE0240 AC000002
	ds_read_b32 v16, v3 offset:4608                            // 000000006B98: D86C1200 10000003
	v_mul_f32_dpp v46, v22, v18 row_newbcast:2 row_mask:0xf bank_mask:0xf// 000000006BA0: 0A5C24FA FF015216
	v_mov_b32_e32 v47, v46                                     // 000000006BA8: 7E5E032E
	v_pk_fma_f32 v[64:65], v[144:145], v[46:47], v[64:65]      // 000000006BAC: D3B04040 1D025D90
	v_pk_fma_f32 v[66:67], v[146:147], v[46:47], v[66:67]      // 000000006BB4: D3B04042 1D0A5D92
	v_pk_fma_f32 v[68:69], v[148:149], v[46:47], v[68:69]      // 000000006BBC: D3B04044 1D125D94
	v_pk_fma_f32 v[70:71], v[150:151], v[46:47], v[70:71]      // 000000006BC4: D3B04046 1D1A5D96
	v_mul_f32_dpp v46, v22, v18 row_newbcast:3 row_mask:0xf bank_mask:0xf// 000000006BCC: 0A5C24FA FF015316
	v_mov_b32_e32 v47, v46                                     // 000000006BD4: 7E5E032E
	v_pk_fma_f32 v[72:73], v[152:153], v[46:47], v[72:73]      // 000000006BD8: D3B04048 1D225D98
	v_pk_fma_f32 v[74:75], v[154:155], v[46:47], v[74:75]      // 000000006BE0: D3B0404A 1D2A5D9A
	v_pk_fma_f32 v[76:77], v[156:157], v[46:47], v[76:77]      // 000000006BE8: D3B0404C 1D325D9C
	v_pk_fma_f32 v[78:79], v[158:159], v[46:47], v[78:79]      // 000000006BF0: D3B0404E 1D3A5D9E
	s_add_u32 s60, 0x200, s80                                  // 000000006BF8: 803C50FF 00000200
	s_cmp_lt_u32 s60, s81                                      // 000000006C00: BF0A513C
	s_cselect_b32 s57, s57, 0                                  // 000000006C04: 85398039
	s_add_u32 s60, 0x200, s80                                  // 000000006C08: 803C50FF 00000200
	s_cmp_lt_u32 s60, s81                                      // 000000006C10: BF0A513C
	s_cselect_b32 s58, s58, 0                                  // 000000006C14: 853A803A
	s_cselect_b32 s90, s90, 0                                  // 000000006C18: 855A805A
	s_add_u32 s20, s57, s20                                    // 000000006C1C: 80141439
	s_addc_u32 s21, 0, s21                                     // 000000006C20: 82151580
	s_add_u32 s24, s58, s24                                    // 000000006C24: 8018183A
	s_addc_u32 s25, 0, s25                                     // 000000006C28: 82191980
	s_add_u32 s92, s90, s92                                    // 000000006C2C: 805C5C5A
	s_addc_u32 s93, 0, s93                                     // 000000006C30: 825D5D80
	s_addk_i32 s80, 0x100                                      // 000000006C34: B7500100
	s_cmp_lt_i32 s80, s81                                      // 000000006C38: BF045150
	s_cbranch_scc0 label_0F91                                  // 000000006C3C: BF840001
	s_branch label_0CB0                                        // 000000006C40: BF82FD1F

0000000000006c44 <label_0F91>:
	s_mov_b32 s20, 0                                           // 000000006C44: BE940080
	s_cmp_lt_u32 s89, s66                                      // 000000006C48: BF0A4259
	s_cselect_b32 s60, 0, 1                                    // 000000006C4C: 853C8180
	s_lshl1_add_u32 s20, s20, s60                              // 000000006C50: 97143C14
	s_cmp_lt_u32 s88, s66                                      // 000000006C54: BF0A4258
	s_cselect_b32 s60, 0, 1                                    // 000000006C58: 853C8180
	s_lshl1_add_u32 s20, s20, s60                              // 000000006C5C: 97143C14
	s_cmp_lt_u32 s87, s66                                      // 000000006C60: BF0A4257
	s_cselect_b32 s60, 0, 1                                    // 000000006C64: 853C8180
	s_lshl1_add_u32 s20, s20, s60                              // 000000006C68: 97143C14
	s_cmp_lt_u32 s86, s66                                      // 000000006C6C: BF0A4256
	s_cselect_b32 s60, 0, 1                                    // 000000006C70: 853C8180
	s_lshl1_add_u32 s20, s20, s60                              // 000000006C74: 97143C14
	s_cmp_lt_u32 s85, s66                                      // 000000006C78: BF0A4255
	s_cselect_b32 s60, 0, 1                                    // 000000006C7C: 853C8180
	s_lshl1_add_u32 s20, s20, s60                              // 000000006C80: 97143C14
	s_cmp_lt_u32 s84, s66                                      // 000000006C84: BF0A4254
	s_cselect_b32 s60, 0, 1                                    // 000000006C88: 853C8180
	s_lshl1_add_u32 s20, s20, s60                              // 000000006C8C: 97143C14
	s_cmp_lt_u32 s83, s66                                      // 000000006C90: BF0A4253
	s_cselect_b32 s60, 0, 1                                    // 000000006C94: 853C8180
	s_lshl1_add_u32 s20, s20, s60                              // 000000006C98: 97143C14
	s_cmp_lt_u32 s82, s66                                      // 000000006C9C: BF0A4252
	s_cselect_b32 s60, 0, 1                                    // 000000006CA0: 853C8180
	s_lshl1_add_u32 s20, s20, s60                              // 000000006CA4: 97143C14
	s_waitcnt vmcnt(12)                                        // 000000006CA8: BF8C0F7C
	buffer_load_dword v19, v6, s[16:19], 0 offen               // 000000006CAC: E0501000 80041306
	s_add_u32 s16, s79, s16                                    // 000000006CB4: 8010104F
	s_addc_u32 s17, 0, s17                                     // 000000006CB8: 82111180
	buffer_load_dwordx4 a[0:3], v37, s[12:15], 0 offen         // 000000006CBC: E05C1000 80830025
	buffer_load_dwordx4 a[4:7], v37, s[12:15], 0 offen offset:1024// 000000006CC4: E05C1400 80830425
	buffer_load_dwordx4 a[8:11], v38, s[12:15], 0 offen        // 000000006CCC: E05C1000 80830826
	buffer_load_dwordx4 a[12:15], v38, s[12:15], 0 offen offset:1024// 000000006CD4: E05C1400 80830C26
	v_mul_f32_e64 v46, -v128, s6                               // 000000006CDC: D105002E 20000D80
	v_mul_f32_e64 v47, -v129, s6                               // 000000006CE4: D105002F 20000D81
	v_mul_f32_e64 v48, -v130, s6                               // 000000006CEC: D1050030 20000D82
	v_mul_f32_e64 v49, -v131, s6                               // 000000006CF4: D1050031 20000D83
	v_exp_f32_e32 v46, v46                                     // 000000006CFC: 7E5C412E
	v_exp_f32_e32 v47, v47                                     // 000000006D00: 7E5E412F
	v_exp_f32_e32 v48, v48                                     // 000000006D04: 7E604130
	v_exp_f32_e32 v49, v49                                     // 000000006D08: 7E624131
	buffer_load_dwordx4 a[16:19], v39, s[12:15], 0 offen       // 000000006D0C: E05C1000 80831027
	buffer_load_dwordx4 a[20:23], v39, s[12:15], 0 offen offset:1024// 000000006D14: E05C1400 80831427
	buffer_load_dwordx4 a[24:27], v40, s[12:15], 0 offen       // 000000006D1C: E05C1000 80831828
	buffer_load_dwordx4 a[28:31], v40, s[12:15], 0 offen offset:1024// 000000006D24: E05C1400 80831C28
	s_add_u32 s12, s78, s12                                    // 000000006D2C: 800C0C4E
	s_addc_u32 s13, 0, s13                                     // 000000006D30: 820D0D80
	v_add_f32_e64 v46, v46, 1.0                                // 000000006D34: D101002E 0001E52E
	v_add_f32_e64 v47, v47, 1.0                                // 000000006D3C: D101002F 0001E52F
	v_add_f32_e64 v48, v48, 1.0                                // 000000006D44: D1010030 0001E530
	v_add_f32_e64 v49, v49, 1.0                                // 000000006D4C: D1010031 0001E531
	v_rcp_f32_e32 v46, v46                                     // 000000006D54: 7E5C452E
	v_rcp_f32_e32 v47, v47                                     // 000000006D58: 7E5E452F
	v_rcp_f32_e32 v48, v48                                     // 000000006D5C: 7E604530
	v_rcp_f32_e32 v49, v49                                     // 000000006D60: 7E624531
	v_mul_f32_e32 v128, v128, v46                              // 000000006D64: 0B005D80
	v_mul_f32_e32 v129, v129, v47                              // 000000006D68: 0B025F81
	v_mul_f32_e32 v130, v130, v48                              // 000000006D6C: 0B046182
	v_mul_f32_e32 v131, v131, v49                              // 000000006D70: 0B066383
	v_mul_f32_e32 v128, v128, v64                              // 000000006D74: 0B008180
	v_mul_f32_e32 v129, v129, v65                              // 000000006D78: 0B028381
	v_mul_f32_e32 v130, v130, v66                              // 000000006D7C: 0B048582
	v_mul_f32_e32 v131, v131, v67                              // 000000006D80: 0B068783
	s_waitcnt vmcnt(12)                                        // 000000006D84: BF8C0F7C
	buffer_load_dwordx4 a[32:35], v37, s[12:15], 0 offen       // 000000006D88: E05C1000 80832025
	buffer_load_dwordx4 a[36:39], v37, s[12:15], 0 offen offset:1024// 000000006D90: E05C1400 80832425
	buffer_load_dwordx4 a[40:43], v38, s[12:15], 0 offen       // 000000006D98: E05C1000 80832826
	buffer_load_dwordx4 a[44:47], v38, s[12:15], 0 offen offset:1024// 000000006DA0: E05C1400 80832C26
	v_mul_f32_e64 v46, -v132, s6                               // 000000006DA8: D105002E 20000D84
	v_mul_f32_e64 v47, -v133, s6                               // 000000006DB0: D105002F 20000D85
	v_mul_f32_e64 v48, -v134, s6                               // 000000006DB8: D1050030 20000D86
	v_mul_f32_e64 v49, -v135, s6                               // 000000006DC0: D1050031 20000D87
	v_exp_f32_e32 v46, v46                                     // 000000006DC8: 7E5C412E
	v_exp_f32_e32 v47, v47                                     // 000000006DCC: 7E5E412F
	v_exp_f32_e32 v48, v48                                     // 000000006DD0: 7E604130
	v_exp_f32_e32 v49, v49                                     // 000000006DD4: 7E624131
	buffer_load_dwordx4 a[48:51], v39, s[12:15], 0 offen       // 000000006DD8: E05C1000 80833027
	buffer_load_dwordx4 a[52:55], v39, s[12:15], 0 offen offset:1024// 000000006DE0: E05C1400 80833427
	buffer_load_dwordx4 a[56:59], v40, s[12:15], 0 offen       // 000000006DE8: E05C1000 80833828
	buffer_load_dwordx4 a[60:63], v40, s[12:15], 0 offen offset:1024// 000000006DF0: E05C1400 80833C28
	s_add_u32 s12, s56, s12                                    // 000000006DF8: 800C0C38
	s_addc_u32 s13, 0, s13                                     // 000000006DFC: 820D0D80
	v_add_f32_e64 v46, v46, 1.0                                // 000000006E00: D101002E 0001E52E
	v_add_f32_e64 v47, v47, 1.0                                // 000000006E08: D101002F 0001E52F
	v_add_f32_e64 v48, v48, 1.0                                // 000000006E10: D1010030 0001E530
	v_add_f32_e64 v49, v49, 1.0                                // 000000006E18: D1010031 0001E531
	v_rcp_f32_e32 v46, v46                                     // 000000006E20: 7E5C452E
	v_rcp_f32_e32 v47, v47                                     // 000000006E24: 7E5E452F
	v_rcp_f32_e32 v48, v48                                     // 000000006E28: 7E604530
	v_rcp_f32_e32 v49, v49                                     // 000000006E2C: 7E624531
	v_mul_f32_e32 v132, v132, v46                              // 000000006E30: 0B085D84
	v_mul_f32_e32 v133, v133, v47                              // 000000006E34: 0B0A5F85
	v_mul_f32_e32 v134, v134, v48                              // 000000006E38: 0B0C6186
	v_mul_f32_e32 v135, v135, v49                              // 000000006E3C: 0B0E6387
	v_mul_f32_e32 v132, v132, v68                              // 000000006E40: 0B088984
	v_mul_f32_e32 v133, v133, v69                              // 000000006E44: 0B0A8B85
	v_mul_f32_e32 v134, v134, v70                              // 000000006E48: 0B0C8D86
	v_mul_f32_e32 v135, v135, v71                              // 000000006E4C: 0B0E8F87
	s_waitcnt vmcnt(12)                                        // 000000006E50: BF8C0F7C
	buffer_load_dword v20, v6, s[16:19], 0 offen               // 000000006E54: E0501000 80041406
	s_add_u32 s16, s79, s16                                    // 000000006E5C: 8010104F
	s_addc_u32 s17, 0, s17                                     // 000000006E60: 82111180
	buffer_load_dwordx4 a[64:67], v37, s[12:15], 0 offen       // 000000006E64: E05C1000 80834025
	buffer_load_dwordx4 a[68:71], v37, s[12:15], 0 offen offset:1024// 000000006E6C: E05C1400 80834425
	buffer_load_dwordx4 a[72:75], v38, s[12:15], 0 offen       // 000000006E74: E05C1000 80834826
	buffer_load_dwordx4 a[76:79], v38, s[12:15], 0 offen offset:1024// 000000006E7C: E05C1400 80834C26
	v_mul_f32_e64 v46, -v136, s6                               // 000000006E84: D105002E 20000D88
	v_mul_f32_e64 v47, -v137, s6                               // 000000006E8C: D105002F 20000D89
	v_mul_f32_e64 v48, -v138, s6                               // 000000006E94: D1050030 20000D8A
	v_mul_f32_e64 v49, -v139, s6                               // 000000006E9C: D1050031 20000D8B
	v_exp_f32_e32 v46, v46                                     // 000000006EA4: 7E5C412E
	v_exp_f32_e32 v47, v47                                     // 000000006EA8: 7E5E412F
	v_exp_f32_e32 v48, v48                                     // 000000006EAC: 7E604130
	v_exp_f32_e32 v49, v49                                     // 000000006EB0: 7E624131
	buffer_load_dwordx4 a[80:83], v39, s[12:15], 0 offen       // 000000006EB4: E05C1000 80835027
	buffer_load_dwordx4 a[84:87], v39, s[12:15], 0 offen offset:1024// 000000006EBC: E05C1400 80835427
	buffer_load_dwordx4 a[88:91], v40, s[12:15], 0 offen       // 000000006EC4: E05C1000 80835828
	buffer_load_dwordx4 a[92:95], v40, s[12:15], 0 offen offset:1024// 000000006ECC: E05C1400 80835C28
	s_add_u32 s12, s78, s12                                    // 000000006ED4: 800C0C4E
	s_addc_u32 s13, 0, s13                                     // 000000006ED8: 820D0D80
	v_add_f32_e64 v46, v46, 1.0                                // 000000006EDC: D101002E 0001E52E
	v_add_f32_e64 v47, v47, 1.0                                // 000000006EE4: D101002F 0001E52F
	v_add_f32_e64 v48, v48, 1.0                                // 000000006EEC: D1010030 0001E530
	v_add_f32_e64 v49, v49, 1.0                                // 000000006EF4: D1010031 0001E531
	v_rcp_f32_e32 v46, v46                                     // 000000006EFC: 7E5C452E
	v_rcp_f32_e32 v47, v47                                     // 000000006F00: 7E5E452F
	v_rcp_f32_e32 v48, v48                                     // 000000006F04: 7E604530
	v_rcp_f32_e32 v49, v49                                     // 000000006F08: 7E624531
	v_mul_f32_e32 v136, v136, v46                              // 000000006F0C: 0B105D88
	v_mul_f32_e32 v137, v137, v47                              // 000000006F10: 0B125F89
	v_mul_f32_e32 v138, v138, v48                              // 000000006F14: 0B14618A
	v_mul_f32_e32 v139, v139, v49                              // 000000006F18: 0B16638B
	v_mul_f32_e32 v136, v136, v72                              // 000000006F1C: 0B109188
	v_mul_f32_e32 v137, v137, v73                              // 000000006F20: 0B129389
	v_mul_f32_e32 v138, v138, v74                              // 000000006F24: 0B14958A
	v_mul_f32_e32 v139, v139, v75                              // 000000006F28: 0B16978B
	s_waitcnt vmcnt(12)                                        // 000000006F2C: BF8C0F7C
	buffer_load_dwordx4 a[96:99], v37, s[12:15], 0 offen       // 000000006F30: E05C1000 80836025
	buffer_load_dwordx4 a[100:103], v37, s[12:15], 0 offen offset:1024// 000000006F38: E05C1400 80836425
	buffer_load_dwordx4 a[104:107], v38, s[12:15], 0 offen     // 000000006F40: E05C1000 80836826
	buffer_load_dwordx4 a[108:111], v38, s[12:15], 0 offen offset:1024// 000000006F48: E05C1400 80836C26
	v_mul_f32_e64 v46, -v140, s6                               // 000000006F50: D105002E 20000D8C
	v_mul_f32_e64 v47, -v141, s6                               // 000000006F58: D105002F 20000D8D
	v_mul_f32_e64 v48, -v142, s6                               // 000000006F60: D1050030 20000D8E
	v_mul_f32_e64 v49, -v143, s6                               // 000000006F68: D1050031 20000D8F
	v_exp_f32_e32 v46, v46                                     // 000000006F70: 7E5C412E
	v_exp_f32_e32 v47, v47                                     // 000000006F74: 7E5E412F
	v_exp_f32_e32 v48, v48                                     // 000000006F78: 7E604130
	v_exp_f32_e32 v49, v49                                     // 000000006F7C: 7E624131
	buffer_load_dwordx4 a[112:115], v39, s[12:15], 0 offen     // 000000006F80: E05C1000 80837027
	buffer_load_dwordx4 a[116:119], v39, s[12:15], 0 offen offset:1024// 000000006F88: E05C1400 80837427
	buffer_load_dwordx4 a[120:123], v40, s[12:15], 0 offen     // 000000006F90: E05C1000 80837828
	buffer_load_dwordx4 a[124:127], v40, s[12:15], 0 offen offset:1024// 000000006F98: E05C1400 80837C28
	s_add_u32 s12, s56, s12                                    // 000000006FA0: 800C0C38
	s_addc_u32 s13, 0, s13                                     // 000000006FA4: 820D0D80
	v_add_f32_e64 v46, v46, 1.0                                // 000000006FA8: D101002E 0001E52E
	v_add_f32_e64 v47, v47, 1.0                                // 000000006FB0: D101002F 0001E52F
	v_add_f32_e64 v48, v48, 1.0                                // 000000006FB8: D1010030 0001E530
	v_add_f32_e64 v49, v49, 1.0                                // 000000006FC0: D1010031 0001E531
	v_rcp_f32_e32 v46, v46                                     // 000000006FC8: 7E5C452E
	v_rcp_f32_e32 v47, v47                                     // 000000006FCC: 7E5E452F
	v_rcp_f32_e32 v48, v48                                     // 000000006FD0: 7E604530
	v_rcp_f32_e32 v49, v49                                     // 000000006FD4: 7E624531
	v_mul_f32_e32 v140, v140, v46                              // 000000006FD8: 0B185D8C
	v_mul_f32_e32 v141, v141, v47                              // 000000006FDC: 0B1A5F8D
	v_mul_f32_e32 v142, v142, v48                              // 000000006FE0: 0B1C618E
	v_mul_f32_e32 v143, v143, v49                              // 000000006FE4: 0B1E638F
	v_mul_f32_e32 v140, v140, v76                              // 000000006FE8: 0B18998C
	v_mul_f32_e32 v141, v141, v77                              // 000000006FEC: 0B1A9B8D
	v_mul_f32_e32 v142, v142, v78                              // 000000006FF0: 0B1C9D8E
	v_mul_f32_e32 v143, v143, v79                              // 000000006FF4: 0B1E9F8F
	v_lshlrev_b32_e32 v46, 2, v0                               // 000000006FF8: 245C0082
	s_mul_i32 s60, s82, s71                                    // 000000006FFC: 923C4752
	v_add_u32_e64 v80, v46, s60                                // 000000007000: D1340050 0000792E
	v_mov_b32_e32 v81, 0                                       // 000000007008: 7EA20280
	s_mul_i32 s60, s83, s71                                    // 00000000700C: 923C4753
	v_add_u32_e64 v82, v46, s60                                // 000000007010: D1340052 0000792E
	v_mov_b32_e32 v83, 0                                       // 000000007018: 7EA60280
	s_mul_i32 s60, s84, s71                                    // 00000000701C: 923C4754
	v_add_u32_e64 v84, v46, s60                                // 000000007020: D1340054 0000792E
	v_mov_b32_e32 v85, 0                                       // 000000007028: 7EAA0280
	s_mul_i32 s60, s85, s71                                    // 00000000702C: 923C4755
	v_add_u32_e64 v86, v46, s60                                // 000000007030: D1340056 0000792E
	v_mov_b32_e32 v87, 0                                       // 000000007038: 7EAE0280
	v_mov_b32_e32 v26, 0x358637bd                              // 00000000703C: 7E3402FF 358637BD
	v_max3_f32 v26, |v128|, |v129|, v26                        // 000000007044: D1D3031A 046B0380
	v_max3_f32 v26, |v130|, |v131|, v26                        // 00000000704C: D1D3031A 046B0782
	v_max3_f32 v26, |v132|, |v133|, v26                        // 000000007054: D1D3031A 046B0B84
	v_max3_f32 v26, |v134|, |v135|, v26                        // 00000000705C: D1D3031A 046B0F86
	v_mov_b32_e32 v46, v26                                     // 000000007064: 7E5C031A
	s_nop 1                                                    // 000000007068: BF800001
	v_permlane32_swap_b32_e32 v46, v26                         // 00000000706C: 7E5CB51A
	v_max_f32_e32 v26, v46, v26                                // 000000007070: 1634352E
	v_mov_b32_e32 v46, v26                                     // 000000007074: 7E5C031A
	s_nop 1                                                    // 000000007078: BF800001
	v_permlane16_swap_b32_e32 v46, v26                         // 00000000707C: 7E5CB31A
	v_max_f32_e32 v26, v46, v26                                // 000000007080: 1634352E
	v_lshlrev_b32_e32 v46, 2, v0                               // 000000007084: 245C0082
	s_mul_i32 s60, 64, s7                                      // 000000007088: 923C07C0
	v_add_u32_e32 v46, s60, v46                                // 00000000708C: 685C5C3C
	s_mov_b32 s60, 0xffff                                      // 000000007090: BEBC00FF 0000FFFF
	s_mov_b32 s61, 0                                           // 000000007098: BEBD0080
	s_mov_b64 exec, s[60:61]                                   // 00000000709C: BEFE013C
	ds_write_b32 v46, v26 offset:10752                         // 0000000070A0: D81A2A00 00001A2E
	s_mov_b32 s60, -1                                          // 0000000070A8: BEBC00C1
	s_mov_b32 s61, -1                                          // 0000000070AC: BEBD00C1
	s_mov_b64 exec, s[60:61]                                   // 0000000070B0: BEFE013C
	s_waitcnt lgkmcnt(0)                                       // 0000000070B4: BF8CC07F
	s_barrier                                                  // 0000000070B8: BF8A0000
	v_lshlrev_b32_e32 v46, 2, v0                               // 0000000070BC: 245C0082
	ds_read_b32 v144, v46 offset:10752                         // 0000000070C0: D86C2A00 9000002E
	s_waitcnt lgkmcnt(0)                                       // 0000000070C8: BF8CC07F
	v_mov_b32_e32 v46, v144                                    // 0000000070CC: 7E5C0390
	s_nop 1                                                    // 0000000070D0: BF800001
	v_permlane32_swap_b32_e32 v46, v144                        // 0000000070D4: 7E5CB590
	v_max_f32_e32 v144, v46, v144                              // 0000000070D8: 1721212E
	v_mov_b32_e32 v46, v144                                    // 0000000070DC: 7E5C0390
	s_nop 1                                                    // 0000000070E0: BF800001
	v_permlane16_swap_b32_e32 v46, v144                        // 0000000070E4: 7E5CB390
	v_max_f32_e32 v144, v46, v144                              // 0000000070E8: 1721212E
	v_max_f32_e32 v26, v144, v26                               // 0000000070EC: 16343590
	v_rcp_f32_e32 v26, v26                                     // 0000000070F0: 7E34451A
	v_mov_b32_e32 v46, 0x43e00000                              // 0000000070F4: 7E5C02FF 43E00000
	v_mul_f32_e32 v26, v46, v26                                // 0000000070FC: 0A34352E
	v_mul_f32_e32 v128, v26, v128                              // 000000007100: 0B01011A
	v_mul_f32_e32 v129, v26, v129                              // 000000007104: 0B03031A
	v_mul_f32_e32 v130, v26, v130                              // 000000007108: 0B05051A
	v_mul_f32_e32 v131, v26, v131                              // 00000000710C: 0B07071A
	v_cvt_pk_fp8_f32 v128, v128, v129                          // 000000007110: D2A20080 00030380
	v_cvt_pk_fp8_f32 v128, v130, v131 op_sel:[0,0,1]           // 000000007118: D2A24080 00030782
	v_mul_f32_e32 v132, v26, v132                              // 000000007120: 0B09091A
	v_mul_f32_e32 v133, v26, v133                              // 000000007124: 0B0B0B1A
	v_mul_f32_e32 v134, v26, v134                              // 000000007128: 0B0D0D1A
	v_mul_f32_e32 v135, v26, v135                              // 00000000712C: 0B0F0F1A
	v_cvt_pk_fp8_f32 v129, v132, v133                          // 000000007130: D2A20081 00030B84
	v_cvt_pk_fp8_f32 v129, v134, v135 op_sel:[0,0,1]           // 000000007138: D2A24081 00030F86
	v_rcp_f32_e32 v28, v26                                     // 000000007140: 7E38451A
	v_nop                                                      // 000000007144: 7E000000
	v_mov_b32_e32 v26, 0x358637bd                              // 000000007148: 7E3402FF 358637BD
	v_max3_f32 v26, |v136|, |v137|, v26                        // 000000007150: D1D3031A 046B1388
	v_max3_f32 v26, |v138|, |v139|, v26                        // 000000007158: D1D3031A 046B178A
	v_max3_f32 v26, |v140|, |v141|, v26                        // 000000007160: D1D3031A 046B1B8C
	v_max3_f32 v26, |v142|, |v143|, v26                        // 000000007168: D1D3031A 046B1F8E
	v_mov_b32_e32 v46, v26                                     // 000000007170: 7E5C031A
	s_nop 1                                                    // 000000007174: BF800001
	v_permlane32_swap_b32_e32 v46, v26                         // 000000007178: 7E5CB51A
	v_max_f32_e32 v26, v46, v26                                // 00000000717C: 1634352E
	v_mov_b32_e32 v46, v26                                     // 000000007180: 7E5C031A
	s_nop 1                                                    // 000000007184: BF800001
	v_permlane16_swap_b32_e32 v46, v26                         // 000000007188: 7E5CB31A
	v_max_f32_e32 v26, v46, v26                                // 00000000718C: 1634352E
	v_lshlrev_b32_e32 v46, 2, v0                               // 000000007190: 245C0082
	s_mul_i32 s60, 64, s7                                      // 000000007194: 923C07C0
	v_add_u32_e32 v46, s60, v46                                // 000000007198: 685C5C3C
	s_mov_b32 s60, 0xffff                                      // 00000000719C: BEBC00FF 0000FFFF
	s_mov_b32 s61, 0                                           // 0000000071A4: BEBD0080
	s_mov_b64 exec, s[60:61]                                   // 0000000071A8: BEFE013C
	ds_write_b32 v46, v26 offset:10752                         // 0000000071AC: D81A2A00 00001A2E
	s_mov_b32 s60, -1                                          // 0000000071B4: BEBC00C1
	s_mov_b32 s61, -1                                          // 0000000071B8: BEBD00C1
	s_mov_b64 exec, s[60:61]                                   // 0000000071BC: BEFE013C
	s_waitcnt lgkmcnt(0)                                       // 0000000071C0: BF8CC07F
	s_barrier                                                  // 0000000071C4: BF8A0000
	v_lshlrev_b32_e32 v46, 2, v0                               // 0000000071C8: 245C0082
	ds_read_b32 v144, v46 offset:10752                         // 0000000071CC: D86C2A00 9000002E
	s_waitcnt lgkmcnt(0)                                       // 0000000071D4: BF8CC07F
	v_mov_b32_e32 v46, v144                                    // 0000000071D8: 7E5C0390
	s_nop 1                                                    // 0000000071DC: BF800001
	v_permlane32_swap_b32_e32 v46, v144                        // 0000000071E0: 7E5CB590
	v_max_f32_e32 v144, v46, v144                              // 0000000071E4: 1721212E
	v_mov_b32_e32 v46, v144                                    // 0000000071E8: 7E5C0390
	s_nop 1                                                    // 0000000071EC: BF800001
	v_permlane16_swap_b32_e32 v46, v144                        // 0000000071F0: 7E5CB390
	v_max_f32_e32 v144, v46, v144                              // 0000000071F4: 1721212E
	v_max_f32_e32 v26, v144, v26                               // 0000000071F8: 16343590
	v_rcp_f32_e32 v26, v26                                     // 0000000071FC: 7E34451A
	v_mov_b32_e32 v46, 0x43e00000                              // 000000007200: 7E5C02FF 43E00000
	v_mul_f32_e32 v26, v46, v26                                // 000000007208: 0A34352E
	v_mul_f32_e32 v136, v26, v136                              // 00000000720C: 0B11111A
	v_mul_f32_e32 v137, v26, v137                              // 000000007210: 0B13131A
	v_mul_f32_e32 v138, v26, v138                              // 000000007214: 0B15151A
	v_mul_f32_e32 v139, v26, v139                              // 000000007218: 0B17171A
	v_cvt_pk_fp8_f32 v130, v136, v137                          // 00000000721C: D2A20082 00031388
	v_cvt_pk_fp8_f32 v130, v138, v139 op_sel:[0,0,1]           // 000000007224: D2A24082 0003178A
	v_mul_f32_e32 v140, v26, v140                              // 00000000722C: 0B19191A
	v_mul_f32_e32 v141, v26, v141                              // 000000007230: 0B1B1B1A
	v_mul_f32_e32 v142, v26, v142                              // 000000007234: 0B1D1D1A
	v_mul_f32_e32 v143, v26, v143                              // 000000007238: 0B1F1F1A
	v_cvt_pk_fp8_f32 v131, v140, v141                          // 00000000723C: D2A20083 00031B8C
	v_cvt_pk_fp8_f32 v131, v142, v143 op_sel:[0,0,1]           // 000000007244: D2A24083 00031F8E
	v_rcp_f32_e32 v29, v26                                     // 00000000724C: 7E3A451A
	v_nop                                                      // 000000007250: 7E000000
	v_lshrrev_b32_e32 v46, 5, v0                               // 000000007254: 205C0085
	v_lshlrev_b32_e32 v47, 6, v46                              // 000000007258: 245E5C86
	v_and_b32_e32 v46, 31, v0                                  // 00000000725C: 265C009F
	v_lshrrev_b32_e32 v48, 4, v46                              // 000000007260: 20605C84
	v_add_u32_e32 v47, v48, v47                                // 000000007264: 685E5F30
	v_and_b32_e32 v46, 15, v0                                  // 000000007268: 265C008F
	v_lshlrev_b32_e32 v46, 1, v46                              // 00000000726C: 245C5C81
	v_add_u32_e32 v47, v46, v47                                // 000000007270: 685E5F2E
	v_lshlrev_b32_e32 v46, 2, v47                              // 000000007274: 245C5E82
	s_mov_b32 s60, 0                                           // 000000007278: BEBC0080
	s_lshr_b32 s61, s7, 1                                      // 00000000727C: 8F3D8107
	s_mul_i32 s61, s61, 0x200                                  // 000000007280: 923DFF3D 00000200
	s_add_u32 s60, s61, s60                                    // 000000007288: 803C3C3D
	s_and_b32 s61, s7, 1                                       // 00000000728C: 863D8107
	s_mul_i32 s61, s61, 0x80                                   // 000000007290: 923DFF3D 00000080
	s_add_u32 s60, s61, s60                                    // 000000007298: 803C3C3D
	v_add_u32_e64 v46, v46, s60                                // 00000000729C: D134002E 0000792E
	ds_write_b32 v46, v128 offset:11776                        // 0000000072A4: D81A2E00 0000802E
	ds_write_b32 v46, v129 offset:12800                        // 0000000072AC: D81A3200 0000812E
	ds_write_b32 v46, v130 offset:13824                        // 0000000072B4: D81A3600 0000822E
	ds_write_b32 v46, v131 offset:14848                        // 0000000072BC: D81A3A00 0000832E
	s_waitcnt lgkmcnt(0)                                       // 0000000072C4: BF8CC07F
	s_barrier                                                  // 0000000072C8: BF8A0000
	v_and_b32_e32 v46, 31, v0                                  // 0000000072CC: 265C009F
	v_lshrrev_b32_e32 v46, 4, v46                              // 0000000072D0: 205C5C84
	v_lshlrev_b32_e32 v47, 5, v46                              // 0000000072D4: 245E5C85
	v_lshrrev_b32_e32 v46, 5, v0                               // 0000000072D8: 205C0085
	v_lshlrev_b32_e32 v46, 7, v46                              // 0000000072DC: 245C5C87
	v_add_u32_e32 v47, v46, v47                                // 0000000072E0: 685E5F2E
	v_and_b32_e32 v46, 15, v0                                  // 0000000072E4: 265C008F
	v_lshlrev_b32_e32 v46, 1, v46                              // 0000000072E8: 245C5C81
	v_add_u32_e32 v47, v46, v47                                // 0000000072EC: 685E5F2E
	v_lshlrev_b32_e32 v46, 2, v47                              // 0000000072F0: 245C5E82
	ds_read_b64 v[128:129], v46 offset:11776                   // 0000000072F4: D8EC2E00 8000002E
	ds_read_b64 v[130:131], v46 offset:12032                   // 0000000072FC: D8EC2F00 8200002E
	ds_read_b64 v[132:133], v46 offset:12800                   // 000000007304: D8EC3200 8400002E
	ds_read_b64 v[134:135], v46 offset:13056                   // 00000000730C: D8EC3300 8600002E
	ds_read_b64 v[136:137], v46 offset:13824                   // 000000007314: D8EC3600 8800002E
	ds_read_b64 v[138:139], v46 offset:14080                   // 00000000731C: D8EC3700 8A00002E
	ds_read_b64 v[140:141], v46 offset:14848                   // 000000007324: D8EC3A00 8C00002E
	ds_read_b64 v[142:143], v46 offset:15104                   // 00000000732C: D8EC3B00 8E00002E
	s_waitcnt lgkmcnt(0)                                       // 000000007334: BF8CC07F
	s_barrier                                                  // 000000007338: BF8A0000
	v_mov_b32_e32 v160, 0                                      // 00000000733C: 7F400280
	v_mov_b32_e32 v176, 0                                      // 000000007340: 7F600280
	v_mov_b32_e32 v161, 0                                      // 000000007344: 7F420280
	v_mov_b32_e32 v177, 0                                      // 000000007348: 7F620280
	v_mov_b32_e32 v162, 0                                      // 00000000734C: 7F440280
	v_mov_b32_e32 v178, 0                                      // 000000007350: 7F640280
	v_mov_b32_e32 v163, 0                                      // 000000007354: 7F460280
	v_mov_b32_e32 v179, 0                                      // 000000007358: 7F660280
	v_mov_b32_e32 v164, 0                                      // 00000000735C: 7F480280
	v_mov_b32_e32 v180, 0                                      // 000000007360: 7F680280
	v_mov_b32_e32 v165, 0                                      // 000000007364: 7F4A0280
	v_mov_b32_e32 v181, 0                                      // 000000007368: 7F6A0280
	v_mov_b32_e32 v166, 0                                      // 00000000736C: 7F4C0280
	v_mov_b32_e32 v182, 0                                      // 000000007370: 7F6C0280
	v_mov_b32_e32 v167, 0                                      // 000000007374: 7F4E0280
	v_mov_b32_e32 v183, 0                                      // 000000007378: 7F6E0280
	v_mov_b32_e32 v168, 0                                      // 00000000737C: 7F500280
	v_mov_b32_e32 v184, 0                                      // 000000007380: 7F700280
	v_mov_b32_e32 v169, 0                                      // 000000007384: 7F520280
	v_mov_b32_e32 v185, 0                                      // 000000007388: 7F720280
	v_mov_b32_e32 v170, 0                                      // 00000000738C: 7F540280
	v_mov_b32_e32 v186, 0                                      // 000000007390: 7F740280
	v_mov_b32_e32 v171, 0                                      // 000000007394: 7F560280
	v_mov_b32_e32 v187, 0                                      // 000000007398: 7F760280
	v_mov_b32_e32 v172, 0                                      // 00000000739C: 7F580280
	v_mov_b32_e32 v188, 0                                      // 0000000073A0: 7F780280
	v_mov_b32_e32 v173, 0                                      // 0000000073A4: 7F5A0280
	v_mov_b32_e32 v189, 0                                      // 0000000073A8: 7F7A0280
	v_mov_b32_e32 v174, 0                                      // 0000000073AC: 7F5C0280
	v_mov_b32_e32 v190, 0                                      // 0000000073B0: 7F7C0280
	v_mov_b32_e32 v175, 0                                      // 0000000073B4: 7F5E0280
	v_mov_b32_e32 v191, 0                                      // 0000000073B8: 7F7E0280
	ds_write_b64 v4, v[160:161] offset:11776                   // 0000000073BC: D89A2E00 0000A004
	ds_write_b64 v4, v[162:163] offset:13952                   // 0000000073C4: D89A3680 0000A204
	ds_write_b64 v4, v[164:165] offset:16128                   // 0000000073CC: D89A3F00 0000A404
	ds_write_b64 v4, v[166:167] offset:18304                   // 0000000073D4: D89A4780 0000A604
	s_mov_b32 s80, 0                                           // 0000000073DC: BED00080

00000000000073e0 <label_1178>:
	s_waitcnt vmcnt(29) lgkmcnt(0)                             // 0000000073E0: BF8C407D
	s_barrier                                                  // 0000000073E4: BF8A0000
	v_mfma_f32_16x16x128_f8f6f4 v[160:163], a[0:7], v[128:135], 0// 0000000073E8: D3AD00A0 0A030100
	buffer_load_dword v21, v6, s[16:19], 0 offen               // 0000000073F0: E0501000 80041506
	buffer_load_dwordx4 a[128:131], v37, s[12:15], 0 offen     // 0000000073F8: E05C1000 80838025
	buffer_load_dwordx4 a[132:135], v37, s[12:15], 0 offen offset:1024// 000000007400: E05C1400 80838425
	buffer_load_dwordx4 a[136:139], v38, s[12:15], 0 offen     // 000000007408: E05C1000 80838826
	buffer_load_dwordx4 a[140:143], v38, s[12:15], 0 offen offset:1024// 000000007410: E05C1400 80838C26
	v_mfma_f32_16x16x128_f8f6f4 v[164:167], a[8:15], v[128:135], 0// 000000007418: D3AD00A4 0A030108
	ds_read_b32 v64, v5 offset:11776                           // 000000007420: D86C2E00 40000005
	ds_read_b32 v65, v5 offset:16128                           // 000000007428: D86C3F00 41000005
	ds_read_b32 v66, v5 offset:11784                           // 000000007430: D86C2E08 42000005
	ds_read_b32 v67, v5 offset:16136                           // 000000007438: D86C3F08 43000005
	ds_read_b32 v68, v5 offset:11808                           // 000000007440: D86C2E20 44000005
	ds_read_b32 v69, v5 offset:16160                           // 000000007448: D86C3F20 45000005
	ds_read_b32 v70, v5 offset:11816                           // 000000007450: D86C2E28 46000005
	ds_read_b32 v71, v5 offset:16168                           // 000000007458: D86C3F28 47000005
	s_waitcnt vmcnt(29)                                        // 000000007460: BF8C4F7D
	v_mfma_f32_16x16x128_f8f6f4 v[168:171], a[16:23], v[128:135], 0// 000000007464: D3AD00A8 0A030110
	buffer_load_dwordx4 a[144:147], v39, s[12:15], 0 offen     // 00000000746C: E05C1000 80839027
	buffer_load_dwordx4 a[148:151], v39, s[12:15], 0 offen offset:1024// 000000007474: E05C1400 80839427
	buffer_load_dwordx4 a[152:155], v40, s[12:15], 0 offen     // 00000000747C: E05C1000 80839828
	buffer_load_dwordx4 a[156:159], v40, s[12:15], 0 offen offset:1024// 000000007484: E05C1400 80839C28
	s_add_u32 s12, s78, s12                                    // 00000000748C: 800C0C4E
	s_addc_u32 s13, 0, s13                                     // 000000007490: 820D0D80
	v_mfma_f32_16x16x128_f8f6f4 v[172:175], a[24:31], v[128:135], 0// 000000007494: D3AD00AC 0A030118
	v_mul_f32_dpp v46, v19, v28 row_newbcast:0 row_mask:0xf bank_mask:0xf// 00000000749C: 0A5C38FA FF015013
	v_mov_b32_e32 v47, v46                                     // 0000000074A4: 7E5E032E
	v_pk_mul_f32 v[160:161], v[46:47], v[160:161]              // 0000000074A8: D3B140A0 1803412E
	v_pk_mul_f32 v[162:163], v[46:47], v[162:163]              // 0000000074B0: D3B140A2 1803452E
	v_pk_mul_f32 v[164:165], v[46:47], v[164:165]              // 0000000074B8: D3B140A4 1803492E
	v_pk_mul_f32 v[166:167], v[46:47], v[166:167]              // 0000000074C0: D3B140A6 18034D2E
	v_mul_f32_dpp v46, v19, v28 row_newbcast:1 row_mask:0xf bank_mask:0xf// 0000000074C8: 0A5C38FA FF015113
	v_mov_b32_e32 v47, v46                                     // 0000000074D0: 7E5E032E
	v_pk_mul_f32 v[168:169], v[46:47], v[168:169]              // 0000000074D4: D3B140A8 1803512E
	v_pk_mul_f32 v[170:171], v[46:47], v[170:171]              // 0000000074DC: D3B140AA 1803552E
	v_pk_mul_f32 v[172:173], v[46:47], v[172:173]              // 0000000074E4: D3B140AC 1803592E
	v_pk_mul_f32 v[174:175], v[46:47], v[174:175]              // 0000000074EC: D3B140AE 18035D2E
	s_waitcnt vmcnt(29)                                        // 0000000074F4: BF8C4F7D
	v_mfma_f32_16x16x128_f8f6f4 v[144:147], a[32:39], v[136:143], 0// 0000000074F8: D3AD0090 0A031120
	buffer_load_dwordx4 a[160:163], v37, s[12:15], 0 offen     // 000000007500: E05C1000 8083A025
	buffer_load_dwordx4 a[164:167], v37, s[12:15], 0 offen offset:1024// 000000007508: E05C1400 8083A425
	buffer_load_dwordx4 a[168:171], v38, s[12:15], 0 offen     // 000000007510: E05C1000 8083A826
	buffer_load_dwordx4 a[172:175], v38, s[12:15], 0 offen offset:1024// 000000007518: E05C1400 8083AC26
	v_mfma_f32_16x16x128_f8f6f4 v[148:151], a[40:47], v[136:143], 0// 000000007520: D3AD0094 0A031128
	ds_write_b64 v4, v[176:177] offset:29184                   // 000000007528: D89A7200 0000B004
	ds_write_b64 v4, v[178:179] offset:31360                   // 000000007530: D89A7A80 0000B204
	ds_write_b64 v4, v[180:181] offset:33536                   // 000000007538: D89A8300 0000B404
	ds_write_b64 v4, v[182:183] offset:35712                   // 000000007540: D89A8B80 0000B604
	s_waitcnt vmcnt(29)                                        // 000000007548: BF8C4F7D
	v_mfma_f32_16x16x128_f8f6f4 v[152:155], a[48:55], v[136:143], 0// 00000000754C: D3AD0098 0A031130
	buffer_load_dwordx4 a[176:179], v39, s[12:15], 0 offen     // 000000007554: E05C1000 8083B027
	buffer_load_dwordx4 a[180:183], v39, s[12:15], 0 offen offset:1024// 00000000755C: E05C1400 8083B427
	buffer_load_dwordx4 a[184:187], v40, s[12:15], 0 offen     // 000000007564: E05C1000 8083B828
	buffer_load_dwordx4 a[188:191], v40, s[12:15], 0 offen offset:1024// 00000000756C: E05C1400 8083BC28
	v_mfma_f32_16x16x128_f8f6f4 v[156:159], a[56:63], v[136:143], 0// 000000007574: D3AD009C 0A031138
	v_mul_f32_dpp v46, v19, v29 row_newbcast:2 row_mask:0xf bank_mask:0xf// 00000000757C: 0A5C3AFA FF015213
	v_mov_b32_e32 v47, v46                                     // 000000007584: 7E5E032E
	v_pk_fma_f32 v[160:161], v[144:145], v[46:47], v[160:161]  // 000000007588: D3B040A0 1E825D90
	v_pk_fma_f32 v[162:163], v[146:147], v[46:47], v[162:163]  // 000000007590: D3B040A2 1E8A5D92
	v_pk_fma_f32 v[164:165], v[148:149], v[46:47], v[164:165]  // 000000007598: D3B040A4 1E925D94
	v_pk_fma_f32 v[166:167], v[150:151], v[46:47], v[166:167]  // 0000000075A0: D3B040A6 1E9A5D96
	v_mul_f32_dpp v46, v19, v29 row_newbcast:3 row_mask:0xf bank_mask:0xf// 0000000075A8: 0A5C3AFA FF015313
	v_mov_b32_e32 v47, v46                                     // 0000000075B0: 7E5E032E
	v_pk_fma_f32 v[168:169], v[152:153], v[46:47], v[168:169]  // 0000000075B4: D3B040A8 1EA25D98
	v_pk_fma_f32 v[170:171], v[154:155], v[46:47], v[170:171]  // 0000000075BC: D3B040AA 1EAA5D9A
	v_pk_fma_f32 v[172:173], v[156:157], v[46:47], v[172:173]  // 0000000075C4: D3B040AC 1EB25D9C
	v_pk_fma_f32 v[174:175], v[158:159], v[46:47], v[174:175]  // 0000000075CC: D3B040AE 1EBA5D9E
	s_add_u32 s60, 0x300, s80                                  // 0000000075D4: 803C50FF 00000300
	s_cmp_lt_u32 s60, s81                                      // 0000000075DC: BF0A513C
	s_cselect_b32 s56, s56, 0                                  // 0000000075E0: 85388038
	s_cselect_b32 s78, s78, 0                                  // 0000000075E4: 854E804E
	s_cselect_b32 s79, s79, 0                                  // 0000000075E8: 854F804F
	s_add_u32 s12, s56, s12                                    // 0000000075EC: 800C0C38
	s_addc_u32 s13, 0, s13                                     // 0000000075F0: 820D0D80
	s_add_u32 s16, s79, s16                                    // 0000000075F4: 8010104F
	s_addc_u32 s17, 0, s17                                     // 0000000075F8: 82111180
	v_mov_b32_e32 v46, v23                                     // 0000000075FC: 7E5C0317
	v_mov_b32_e32 v47, v23                                     // 000000007600: 7E5E0317
	v_pk_mul_f32 v[160:161], v[46:47], v[160:161]              // 000000007604: D3B140A0 1803412E
	v_pk_mul_f32 v[162:163], v[46:47], v[162:163]              // 00000000760C: D3B140A2 1803452E
	v_pk_mul_f32 v[164:165], v[46:47], v[164:165]              // 000000007614: D3B140A4 1803492E
	v_pk_mul_f32 v[166:167], v[46:47], v[166:167]              // 00000000761C: D3B140A6 18034D2E
	v_pk_mul_f32 v[168:169], v[46:47], v[168:169]              // 000000007624: D3B140A8 1803512E
	v_pk_mul_f32 v[170:171], v[46:47], v[170:171]              // 00000000762C: D3B140AA 1803552E
	v_pk_mul_f32 v[172:173], v[46:47], v[172:173]              // 000000007634: D3B140AC 1803592E
	v_pk_mul_f32 v[174:175], v[46:47], v[174:175]              // 00000000763C: D3B140AE 18035D2E
	v_cvt_pk_bf16_f32 v160, v160, v161                         // 000000007644: D26800A0 000343A0
	v_cvt_pk_bf16_f32 v161, v162, v163                         // 00000000764C: D26800A1 000347A2
	v_cvt_pk_bf16_f32 v162, v164, v165                         // 000000007654: D26800A2 00034BA4
	v_cvt_pk_bf16_f32 v163, v166, v167                         // 00000000765C: D26800A3 00034FA6
	v_cvt_pk_bf16_f32 v164, v168, v169                         // 000000007664: D26800A4 000353A8
	v_cvt_pk_bf16_f32 v165, v170, v171                         // 00000000766C: D26800A5 000357AA
	v_cvt_pk_bf16_f32 v166, v172, v173                         // 000000007674: D26800A6 00035BAC
	v_cvt_pk_bf16_f32 v167, v174, v175                         // 00000000767C: D26800A7 00035FAE
	s_cmp_ge_u32 s80, 0x200                                    // 000000007684: BF09FF50 00000200
	s_cselect_b32 s59, 0x200, s59                              // 00000000768C: 853B3BFF 00000200
	s_waitcnt lgkmcnt(0)                                       // 000000007694: BF8CC07F
	s_barrier                                                  // 000000007698: BF8A0000
	s_setvskip s20, 0                                          // 00000000769C: BF108014
	global_atomic_pk_add_bf16 v80, v64, s[8:9]                 // 0000000076A0: DD488000 00084050
	s_setvskip 0, 0                                            // 0000000076A8: BF108080
	s_setvskip s20, 0                                          // 0000000076AC: BF108014
	global_atomic_pk_add_bf16 v80, v65, s[8:9] offset:256      // 0000000076B0: DD488100 00084150
	s_setvskip 0, 0                                            // 0000000076B8: BF108080
	s_setvskip s20, 1                                          // 0000000076BC: BF108114
	global_atomic_pk_add_bf16 v82, v66, s[8:9]                 // 0000000076C0: DD488000 00084252
	s_setvskip 0, 0                                            // 0000000076C8: BF108080
	s_setvskip s20, 1                                          // 0000000076CC: BF108114
	global_atomic_pk_add_bf16 v82, v67, s[8:9] offset:256      // 0000000076D0: DD488100 00084352
	s_setvskip 0, 0                                            // 0000000076D8: BF108080
	s_setvskip s20, 2                                          // 0000000076DC: BF108214
	global_atomic_pk_add_bf16 v84, v68, s[8:9]                 // 0000000076E0: DD488000 00084454
	s_setvskip 0, 0                                            // 0000000076E8: BF108080
	s_setvskip s20, 2                                          // 0000000076EC: BF108214
	global_atomic_pk_add_bf16 v84, v69, s[8:9] offset:256      // 0000000076F0: DD488100 00084554
	s_setvskip 0, 0                                            // 0000000076F8: BF108080
	s_setvskip s20, 3                                          // 0000000076FC: BF108314
	global_atomic_pk_add_bf16 v86, v70, s[8:9]                 // 000000007700: DD488000 00084656
	s_setvskip 0, 0                                            // 000000007708: BF108080
	s_setvskip s20, 3                                          // 00000000770C: BF108314
	global_atomic_pk_add_bf16 v86, v71, s[8:9] offset:256      // 000000007710: DD488100 00084756
	s_setvskip 0, 0                                            // 000000007718: BF108080
	s_add_u32 s8, s59, s8                                      // 00000000771C: 8008083B
	s_addc_u32 s9, 0, s9                                       // 000000007720: 82090980
	s_addk_i32 s80, 0x100                                      // 000000007724: B7500100
	s_cmp_lt_i32 s80, s81                                      // 000000007728: BF045150
	s_cbranch_scc0 label_0CAD                                  // 00000000772C: BF84FA61
	s_waitcnt vmcnt(29) lgkmcnt(0)                             // 000000007730: BF8C407D
	s_barrier                                                  // 000000007734: BF8A0000
	v_mfma_f32_16x16x128_f8f6f4 v[176:179], a[64:71], v[128:135], 0// 000000007738: D3AD00B0 0A030140
	buffer_load_dword v19, v6, s[16:19], 0 offen               // 000000007740: E0501000 80041306
	buffer_load_dwordx4 a[0:3], v37, s[12:15], 0 offen         // 000000007748: E05C1000 80830025
	buffer_load_dwordx4 a[4:7], v37, s[12:15], 0 offen offset:1024// 000000007750: E05C1400 80830425
	buffer_load_dwordx4 a[8:11], v38, s[12:15], 0 offen        // 000000007758: E05C1000 80830826
	buffer_load_dwordx4 a[12:15], v38, s[12:15], 0 offen offset:1024// 000000007760: E05C1400 80830C26
	v_mfma_f32_16x16x128_f8f6f4 v[180:183], a[72:79], v[128:135], 0// 000000007768: D3AD00B4 0A030148
	ds_read_b32 v64, v5 offset:29184                           // 000000007770: D86C7200 40000005
	ds_read_b32 v65, v5 offset:33536                           // 000000007778: D86C8300 41000005
	ds_read_b32 v66, v5 offset:29192                           // 000000007780: D86C7208 42000005
	ds_read_b32 v67, v5 offset:33544                           // 000000007788: D86C8308 43000005
	ds_read_b32 v68, v5 offset:29216                           // 000000007790: D86C7220 44000005
	ds_read_b32 v69, v5 offset:33568                           // 000000007798: D86C8320 45000005
	ds_read_b32 v70, v5 offset:29224                           // 0000000077A0: D86C7228 46000005
	ds_read_b32 v71, v5 offset:33576                           // 0000000077A8: D86C8328 47000005
	s_waitcnt vmcnt(29)                                        // 0000000077B0: BF8C4F7D
	v_mfma_f32_16x16x128_f8f6f4 v[184:187], a[80:87], v[128:135], 0// 0000000077B4: D3AD00B8 0A030150
	buffer_load_dwordx4 a[16:19], v39, s[12:15], 0 offen       // 0000000077BC: E05C1000 80831027
	buffer_load_dwordx4 a[20:23], v39, s[12:15], 0 offen offset:1024// 0000000077C4: E05C1400 80831427
	buffer_load_dwordx4 a[24:27], v40, s[12:15], 0 offen       // 0000000077CC: E05C1000 80831828
	buffer_load_dwordx4 a[28:31], v40, s[12:15], 0 offen offset:1024// 0000000077D4: E05C1400 80831C28
	s_add_u32 s12, s78, s12                                    // 0000000077DC: 800C0C4E
	s_addc_u32 s13, 0, s13                                     // 0000000077E0: 820D0D80
	v_mfma_f32_16x16x128_f8f6f4 v[188:191], a[88:95], v[128:135], 0// 0000000077E4: D3AD00BC 0A030158
	v_mul_f32_dpp v46, v20, v28 row_newbcast:0 row_mask:0xf bank_mask:0xf// 0000000077EC: 0A5C38FA FF015014
	v_mov_b32_e32 v47, v46                                     // 0000000077F4: 7E5E032E
	v_pk_mul_f32 v[176:177], v[46:47], v[176:177]              // 0000000077F8: D3B140B0 1803612E
	v_pk_mul_f32 v[178:179], v[46:47], v[178:179]              // 000000007800: D3B140B2 1803652E
	v_pk_mul_f32 v[180:181], v[46:47], v[180:181]              // 000000007808: D3B140B4 1803692E
	v_pk_mul_f32 v[182:183], v[46:47], v[182:183]              // 000000007810: D3B140B6 18036D2E
	v_mul_f32_dpp v46, v20, v28 row_newbcast:1 row_mask:0xf bank_mask:0xf// 000000007818: 0A5C38FA FF015114
	v_mov_b32_e32 v47, v46                                     // 000000007820: 7E5E032E
	v_pk_mul_f32 v[184:185], v[46:47], v[184:185]              // 000000007824: D3B140B8 1803712E
	v_pk_mul_f32 v[186:187], v[46:47], v[186:187]              // 00000000782C: D3B140BA 1803752E
	v_pk_mul_f32 v[188:189], v[46:47], v[188:189]              // 000000007834: D3B140BC 1803792E
	v_pk_mul_f32 v[190:191], v[46:47], v[190:191]              // 00000000783C: D3B140BE 18037D2E
	s_waitcnt vmcnt(29)                                        // 000000007844: BF8C4F7D
	v_mfma_f32_16x16x128_f8f6f4 v[144:147], a[96:103], v[136:143], 0// 000000007848: D3AD0090 0A031160
	buffer_load_dwordx4 a[32:35], v37, s[12:15], 0 offen       // 000000007850: E05C1000 80832025
	buffer_load_dwordx4 a[36:39], v37, s[12:15], 0 offen offset:1024// 000000007858: E05C1400 80832425
	buffer_load_dwordx4 a[40:43], v38, s[12:15], 0 offen       // 000000007860: E05C1000 80832826
	buffer_load_dwordx4 a[44:47], v38, s[12:15], 0 offen offset:1024// 000000007868: E05C1400 80832C26
	v_mfma_f32_16x16x128_f8f6f4 v[148:151], a[104:111], v[136:143], 0// 000000007870: D3AD0094 0A031168
	ds_write_b64 v4, v[160:161] offset:11776                   // 000000007878: D89A2E00 0000A004
	ds_write_b64 v4, v[162:163] offset:13952                   // 000000007880: D89A3680 0000A204
	ds_write_b64 v4, v[164:165] offset:16128                   // 000000007888: D89A3F00 0000A404
	ds_write_b64 v4, v[166:167] offset:18304                   // 000000007890: D89A4780 0000A604
	s_waitcnt vmcnt(29)                                        // 000000007898: BF8C4F7D
	v_mfma_f32_16x16x128_f8f6f4 v[152:155], a[112:119], v[136:143], 0// 00000000789C: D3AD0098 0A031170
	buffer_load_dwordx4 a[48:51], v39, s[12:15], 0 offen       // 0000000078A4: E05C1000 80833027
	buffer_load_dwordx4 a[52:55], v39, s[12:15], 0 offen offset:1024// 0000000078AC: E05C1400 80833427
	buffer_load_dwordx4 a[56:59], v40, s[12:15], 0 offen       // 0000000078B4: E05C1000 80833828
	buffer_load_dwordx4 a[60:63], v40, s[12:15], 0 offen offset:1024// 0000000078BC: E05C1400 80833C28
	v_mfma_f32_16x16x128_f8f6f4 v[156:159], a[120:127], v[136:143], 0// 0000000078C4: D3AD009C 0A031178
	v_mul_f32_dpp v46, v20, v29 row_newbcast:2 row_mask:0xf bank_mask:0xf// 0000000078CC: 0A5C3AFA FF015214
	v_mov_b32_e32 v47, v46                                     // 0000000078D4: 7E5E032E
	v_pk_fma_f32 v[176:177], v[144:145], v[46:47], v[176:177]  // 0000000078D8: D3B040B0 1EC25D90
	v_pk_fma_f32 v[178:179], v[146:147], v[46:47], v[178:179]  // 0000000078E0: D3B040B2 1ECA5D92
	v_pk_fma_f32 v[180:181], v[148:149], v[46:47], v[180:181]  // 0000000078E8: D3B040B4 1ED25D94
	v_pk_fma_f32 v[182:183], v[150:151], v[46:47], v[182:183]  // 0000000078F0: D3B040B6 1EDA5D96
	v_mul_f32_dpp v46, v20, v29 row_newbcast:3 row_mask:0xf bank_mask:0xf// 0000000078F8: 0A5C3AFA FF015314
	v_mov_b32_e32 v47, v46                                     // 000000007900: 7E5E032E
	v_pk_fma_f32 v[184:185], v[152:153], v[46:47], v[184:185]  // 000000007904: D3B040B8 1EE25D98
	v_pk_fma_f32 v[186:187], v[154:155], v[46:47], v[186:187]  // 00000000790C: D3B040BA 1EEA5D9A
	v_pk_fma_f32 v[188:189], v[156:157], v[46:47], v[188:189]  // 000000007914: D3B040BC 1EF25D9C
	v_pk_fma_f32 v[190:191], v[158:159], v[46:47], v[190:191]  // 00000000791C: D3B040BE 1EFA5D9E
	s_add_u32 s60, 0x300, s80                                  // 000000007924: 803C50FF 00000300
	s_cmp_lt_u32 s60, s81                                      // 00000000792C: BF0A513C
	s_cselect_b32 s56, s56, 0                                  // 000000007930: 85388038
	s_cselect_b32 s78, s78, 0                                  // 000000007934: 854E804E
	s_cselect_b32 s79, s79, 0                                  // 000000007938: 854F804F
	s_add_u32 s12, s56, s12                                    // 00000000793C: 800C0C38
	s_addc_u32 s13, 0, s13                                     // 000000007940: 820D0D80
	s_add_u32 s16, s79, s16                                    // 000000007944: 8010104F
	s_addc_u32 s17, 0, s17                                     // 000000007948: 82111180
	v_mov_b32_e32 v46, v23                                     // 00000000794C: 7E5C0317
	v_mov_b32_e32 v47, v23                                     // 000000007950: 7E5E0317
	v_pk_mul_f32 v[176:177], v[46:47], v[176:177]              // 000000007954: D3B140B0 1803612E
	v_pk_mul_f32 v[178:179], v[46:47], v[178:179]              // 00000000795C: D3B140B2 1803652E
	v_pk_mul_f32 v[180:181], v[46:47], v[180:181]              // 000000007964: D3B140B4 1803692E
	v_pk_mul_f32 v[182:183], v[46:47], v[182:183]              // 00000000796C: D3B140B6 18036D2E
	v_pk_mul_f32 v[184:185], v[46:47], v[184:185]              // 000000007974: D3B140B8 1803712E
	v_pk_mul_f32 v[186:187], v[46:47], v[186:187]              // 00000000797C: D3B140BA 1803752E
	v_pk_mul_f32 v[188:189], v[46:47], v[188:189]              // 000000007984: D3B140BC 1803792E
	v_pk_mul_f32 v[190:191], v[46:47], v[190:191]              // 00000000798C: D3B140BE 18037D2E
	v_cvt_pk_bf16_f32 v176, v176, v177                         // 000000007994: D26800B0 000363B0
	v_cvt_pk_bf16_f32 v177, v178, v179                         // 00000000799C: D26800B1 000367B2
	v_cvt_pk_bf16_f32 v178, v180, v181                         // 0000000079A4: D26800B2 00036BB4
	v_cvt_pk_bf16_f32 v179, v182, v183                         // 0000000079AC: D26800B3 00036FB6
	v_cvt_pk_bf16_f32 v180, v184, v185                         // 0000000079B4: D26800B4 000373B8
	v_cvt_pk_bf16_f32 v181, v186, v187                         // 0000000079BC: D26800B5 000377BA
	v_cvt_pk_bf16_f32 v182, v188, v189                         // 0000000079C4: D26800B6 00037BBC
	v_cvt_pk_bf16_f32 v183, v190, v191                         // 0000000079CC: D26800B7 00037FBE
	s_cmp_ge_u32 s80, 0x200                                    // 0000000079D4: BF09FF50 00000200
	s_cselect_b32 s59, 0x200, s59                              // 0000000079DC: 853B3BFF 00000200
	s_waitcnt lgkmcnt(0)                                       // 0000000079E4: BF8CC07F
	s_barrier                                                  // 0000000079E8: BF8A0000
	s_setvskip s20, 0                                          // 0000000079EC: BF108014
	global_atomic_pk_add_bf16 v80, v64, s[8:9]                 // 0000000079F0: DD488000 00084050
	s_setvskip 0, 0                                            // 0000000079F8: BF108080
	s_setvskip s20, 0                                          // 0000000079FC: BF108014
	global_atomic_pk_add_bf16 v80, v65, s[8:9] offset:256      // 000000007A00: DD488100 00084150
	s_setvskip 0, 0                                            // 000000007A08: BF108080
	s_setvskip s20, 1                                          // 000000007A0C: BF108114
	global_atomic_pk_add_bf16 v82, v66, s[8:9]                 // 000000007A10: DD488000 00084252
	s_setvskip 0, 0                                            // 000000007A18: BF108080
	s_setvskip s20, 1                                          // 000000007A1C: BF108114
	global_atomic_pk_add_bf16 v82, v67, s[8:9] offset:256      // 000000007A20: DD488100 00084352
	s_setvskip 0, 0                                            // 000000007A28: BF108080
	s_setvskip s20, 2                                          // 000000007A2C: BF108214
	global_atomic_pk_add_bf16 v84, v68, s[8:9]                 // 000000007A30: DD488000 00084454
	s_setvskip 0, 0                                            // 000000007A38: BF108080
	s_setvskip s20, 2                                          // 000000007A3C: BF108214
	global_atomic_pk_add_bf16 v84, v69, s[8:9] offset:256      // 000000007A40: DD488100 00084554
	s_setvskip 0, 0                                            // 000000007A48: BF108080
	s_setvskip s20, 3                                          // 000000007A4C: BF108314
	global_atomic_pk_add_bf16 v86, v70, s[8:9]                 // 000000007A50: DD488000 00084656
	s_setvskip 0, 0                                            // 000000007A58: BF108080
	s_setvskip s20, 3                                          // 000000007A5C: BF108314
	global_atomic_pk_add_bf16 v86, v71, s[8:9] offset:256      // 000000007A60: DD488100 00084756
	s_setvskip 0, 0                                            // 000000007A68: BF108080
	s_add_u32 s8, s59, s8                                      // 000000007A6C: 8008083B
	s_addc_u32 s9, 0, s9                                       // 000000007A70: 82090980
	s_addk_i32 s80, 0x100                                      // 000000007A74: B7500100
	s_cmp_lt_i32 s80, s81                                      // 000000007A78: BF045150
	s_cbranch_scc0 label_0CAD                                  // 000000007A7C: BF84F98D
	s_waitcnt vmcnt(29) lgkmcnt(0)                             // 000000007A80: BF8C407D
	s_barrier                                                  // 000000007A84: BF8A0000
	v_mfma_f32_16x16x128_f8f6f4 v[160:163], a[128:135], v[128:135], 0// 000000007A88: D3AD00A0 0A030180
	buffer_load_dword v20, v6, s[16:19], 0 offen               // 000000007A90: E0501000 80041406
	buffer_load_dwordx4 a[64:67], v37, s[12:15], 0 offen       // 000000007A98: E05C1000 80834025
	buffer_load_dwordx4 a[68:71], v37, s[12:15], 0 offen offset:1024// 000000007AA0: E05C1400 80834425
	buffer_load_dwordx4 a[72:75], v38, s[12:15], 0 offen       // 000000007AA8: E05C1000 80834826
	buffer_load_dwordx4 a[76:79], v38, s[12:15], 0 offen offset:1024// 000000007AB0: E05C1400 80834C26
	v_mfma_f32_16x16x128_f8f6f4 v[164:167], a[136:143], v[128:135], 0// 000000007AB8: D3AD00A4 0A030188
	ds_read_b32 v64, v5 offset:11776                           // 000000007AC0: D86C2E00 40000005
	ds_read_b32 v65, v5 offset:16128                           // 000000007AC8: D86C3F00 41000005
	ds_read_b32 v66, v5 offset:11784                           // 000000007AD0: D86C2E08 42000005
	ds_read_b32 v67, v5 offset:16136                           // 000000007AD8: D86C3F08 43000005
	ds_read_b32 v68, v5 offset:11808                           // 000000007AE0: D86C2E20 44000005
	ds_read_b32 v69, v5 offset:16160                           // 000000007AE8: D86C3F20 45000005
	ds_read_b32 v70, v5 offset:11816                           // 000000007AF0: D86C2E28 46000005
	ds_read_b32 v71, v5 offset:16168                           // 000000007AF8: D86C3F28 47000005
	s_waitcnt vmcnt(29)                                        // 000000007B00: BF8C4F7D
	v_mfma_f32_16x16x128_f8f6f4 v[168:171], a[144:151], v[128:135], 0// 000000007B04: D3AD00A8 0A030190
	buffer_load_dwordx4 a[80:83], v39, s[12:15], 0 offen       // 000000007B0C: E05C1000 80835027
	buffer_load_dwordx4 a[84:87], v39, s[12:15], 0 offen offset:1024// 000000007B14: E05C1400 80835427
	buffer_load_dwordx4 a[88:91], v40, s[12:15], 0 offen       // 000000007B1C: E05C1000 80835828
	buffer_load_dwordx4 a[92:95], v40, s[12:15], 0 offen offset:1024// 000000007B24: E05C1400 80835C28
	s_add_u32 s12, s78, s12                                    // 000000007B2C: 800C0C4E
	s_addc_u32 s13, 0, s13                                     // 000000007B30: 820D0D80
	v_mfma_f32_16x16x128_f8f6f4 v[172:175], a[152:159], v[128:135], 0// 000000007B34: D3AD00AC 0A030198
	v_mul_f32_dpp v46, v21, v28 row_newbcast:0 row_mask:0xf bank_mask:0xf// 000000007B3C: 0A5C38FA FF015015
	v_mov_b32_e32 v47, v46                                     // 000000007B44: 7E5E032E
	v_pk_mul_f32 v[160:161], v[46:47], v[160:161]              // 000000007B48: D3B140A0 1803412E
	v_pk_mul_f32 v[162:163], v[46:47], v[162:163]              // 000000007B50: D3B140A2 1803452E
	v_pk_mul_f32 v[164:165], v[46:47], v[164:165]              // 000000007B58: D3B140A4 1803492E
	v_pk_mul_f32 v[166:167], v[46:47], v[166:167]              // 000000007B60: D3B140A6 18034D2E
	v_mul_f32_dpp v46, v21, v28 row_newbcast:1 row_mask:0xf bank_mask:0xf// 000000007B68: 0A5C38FA FF015115
	v_mov_b32_e32 v47, v46                                     // 000000007B70: 7E5E032E
	v_pk_mul_f32 v[168:169], v[46:47], v[168:169]              // 000000007B74: D3B140A8 1803512E
	v_pk_mul_f32 v[170:171], v[46:47], v[170:171]              // 000000007B7C: D3B140AA 1803552E
	v_pk_mul_f32 v[172:173], v[46:47], v[172:173]              // 000000007B84: D3B140AC 1803592E
	v_pk_mul_f32 v[174:175], v[46:47], v[174:175]              // 000000007B8C: D3B140AE 18035D2E
	s_waitcnt vmcnt(29)                                        // 000000007B94: BF8C4F7D
	v_mfma_f32_16x16x128_f8f6f4 v[144:147], a[160:167], v[136:143], 0// 000000007B98: D3AD0090 0A0311A0
	buffer_load_dwordx4 a[96:99], v37, s[12:15], 0 offen       // 000000007BA0: E05C1000 80836025
	buffer_load_dwordx4 a[100:103], v37, s[12:15], 0 offen offset:1024// 000000007BA8: E05C1400 80836425
	buffer_load_dwordx4 a[104:107], v38, s[12:15], 0 offen     // 000000007BB0: E05C1000 80836826
	buffer_load_dwordx4 a[108:111], v38, s[12:15], 0 offen offset:1024// 000000007BB8: E05C1400 80836C26
	v_mfma_f32_16x16x128_f8f6f4 v[148:151], a[168:175], v[136:143], 0// 000000007BC0: D3AD0094 0A0311A8
	ds_write_b64 v4, v[176:177] offset:29184                   // 000000007BC8: D89A7200 0000B004
	ds_write_b64 v4, v[178:179] offset:31360                   // 000000007BD0: D89A7A80 0000B204
	ds_write_b64 v4, v[180:181] offset:33536                   // 000000007BD8: D89A8300 0000B404
	ds_write_b64 v4, v[182:183] offset:35712                   // 000000007BE0: D89A8B80 0000B604
	s_waitcnt vmcnt(29)                                        // 000000007BE8: BF8C4F7D
	v_mfma_f32_16x16x128_f8f6f4 v[152:155], a[176:183], v[136:143], 0// 000000007BEC: D3AD0098 0A0311B0
	buffer_load_dwordx4 a[112:115], v39, s[12:15], 0 offen     // 000000007BF4: E05C1000 80837027
	buffer_load_dwordx4 a[116:119], v39, s[12:15], 0 offen offset:1024// 000000007BFC: E05C1400 80837427
	buffer_load_dwordx4 a[120:123], v40, s[12:15], 0 offen     // 000000007C04: E05C1000 80837828
	buffer_load_dwordx4 a[124:127], v40, s[12:15], 0 offen offset:1024// 000000007C0C: E05C1400 80837C28
	v_mfma_f32_16x16x128_f8f6f4 v[156:159], a[184:191], v[136:143], 0// 000000007C14: D3AD009C 0A0311B8
	v_mul_f32_dpp v46, v21, v29 row_newbcast:2 row_mask:0xf bank_mask:0xf// 000000007C1C: 0A5C3AFA FF015215
	v_mov_b32_e32 v47, v46                                     // 000000007C24: 7E5E032E
	v_pk_fma_f32 v[160:161], v[144:145], v[46:47], v[160:161]  // 000000007C28: D3B040A0 1E825D90
	v_pk_fma_f32 v[162:163], v[146:147], v[46:47], v[162:163]  // 000000007C30: D3B040A2 1E8A5D92
	v_pk_fma_f32 v[164:165], v[148:149], v[46:47], v[164:165]  // 000000007C38: D3B040A4 1E925D94
	v_pk_fma_f32 v[166:167], v[150:151], v[46:47], v[166:167]  // 000000007C40: D3B040A6 1E9A5D96
	v_mul_f32_dpp v46, v21, v29 row_newbcast:3 row_mask:0xf bank_mask:0xf// 000000007C48: 0A5C3AFA FF015315
	v_mov_b32_e32 v47, v46                                     // 000000007C50: 7E5E032E
	v_pk_fma_f32 v[168:169], v[152:153], v[46:47], v[168:169]  // 000000007C54: D3B040A8 1EA25D98
	v_pk_fma_f32 v[170:171], v[154:155], v[46:47], v[170:171]  // 000000007C5C: D3B040AA 1EAA5D9A
	v_pk_fma_f32 v[172:173], v[156:157], v[46:47], v[172:173]  // 000000007C64: D3B040AC 1EB25D9C
	v_pk_fma_f32 v[174:175], v[158:159], v[46:47], v[174:175]  // 000000007C6C: D3B040AE 1EBA5D9E
	s_add_u32 s60, 0x300, s80                                  // 000000007C74: 803C50FF 00000300
	s_cmp_lt_u32 s60, s81                                      // 000000007C7C: BF0A513C
	s_cselect_b32 s56, s56, 0                                  // 000000007C80: 85388038
	s_cselect_b32 s78, s78, 0                                  // 000000007C84: 854E804E
	s_cselect_b32 s79, s79, 0                                  // 000000007C88: 854F804F
	s_add_u32 s12, s56, s12                                    // 000000007C8C: 800C0C38
	s_addc_u32 s13, 0, s13                                     // 000000007C90: 820D0D80
	s_add_u32 s16, s79, s16                                    // 000000007C94: 8010104F
	s_addc_u32 s17, 0, s17                                     // 000000007C98: 82111180
	v_mov_b32_e32 v46, v23                                     // 000000007C9C: 7E5C0317
	v_mov_b32_e32 v47, v23                                     // 000000007CA0: 7E5E0317
	v_pk_mul_f32 v[160:161], v[46:47], v[160:161]              // 000000007CA4: D3B140A0 1803412E
	v_pk_mul_f32 v[162:163], v[46:47], v[162:163]              // 000000007CAC: D3B140A2 1803452E
	v_pk_mul_f32 v[164:165], v[46:47], v[164:165]              // 000000007CB4: D3B140A4 1803492E
	v_pk_mul_f32 v[166:167], v[46:47], v[166:167]              // 000000007CBC: D3B140A6 18034D2E
	v_pk_mul_f32 v[168:169], v[46:47], v[168:169]              // 000000007CC4: D3B140A8 1803512E
	v_pk_mul_f32 v[170:171], v[46:47], v[170:171]              // 000000007CCC: D3B140AA 1803552E
	v_pk_mul_f32 v[172:173], v[46:47], v[172:173]              // 000000007CD4: D3B140AC 1803592E
	v_pk_mul_f32 v[174:175], v[46:47], v[174:175]              // 000000007CDC: D3B140AE 18035D2E
	v_cvt_pk_bf16_f32 v160, v160, v161                         // 000000007CE4: D26800A0 000343A0
	v_cvt_pk_bf16_f32 v161, v162, v163                         // 000000007CEC: D26800A1 000347A2
	v_cvt_pk_bf16_f32 v162, v164, v165                         // 000000007CF4: D26800A2 00034BA4
	v_cvt_pk_bf16_f32 v163, v166, v167                         // 000000007CFC: D26800A3 00034FA6
	v_cvt_pk_bf16_f32 v164, v168, v169                         // 000000007D04: D26800A4 000353A8
	v_cvt_pk_bf16_f32 v165, v170, v171                         // 000000007D0C: D26800A5 000357AA
	v_cvt_pk_bf16_f32 v166, v172, v173                         // 000000007D14: D26800A6 00035BAC
	v_cvt_pk_bf16_f32 v167, v174, v175                         // 000000007D1C: D26800A7 00035FAE
	s_cmp_ge_u32 s80, 0x200                                    // 000000007D24: BF09FF50 00000200
	s_cselect_b32 s59, 0x200, s59                              // 000000007D2C: 853B3BFF 00000200
	s_waitcnt lgkmcnt(0)                                       // 000000007D34: BF8CC07F
	s_barrier                                                  // 000000007D38: BF8A0000
	s_setvskip s20, 0                                          // 000000007D3C: BF108014
	global_atomic_pk_add_bf16 v80, v64, s[8:9]                 // 000000007D40: DD488000 00084050
	s_setvskip 0, 0                                            // 000000007D48: BF108080
	s_setvskip s20, 0                                          // 000000007D4C: BF108014
	global_atomic_pk_add_bf16 v80, v65, s[8:9] offset:256      // 000000007D50: DD488100 00084150
	s_setvskip 0, 0                                            // 000000007D58: BF108080
	s_setvskip s20, 1                                          // 000000007D5C: BF108114
	global_atomic_pk_add_bf16 v82, v66, s[8:9]                 // 000000007D60: DD488000 00084252
	s_setvskip 0, 0                                            // 000000007D68: BF108080
	s_setvskip s20, 1                                          // 000000007D6C: BF108114
	global_atomic_pk_add_bf16 v82, v67, s[8:9] offset:256      // 000000007D70: DD488100 00084352
	s_setvskip 0, 0                                            // 000000007D78: BF108080
	s_setvskip s20, 2                                          // 000000007D7C: BF108214
	global_atomic_pk_add_bf16 v84, v68, s[8:9]                 // 000000007D80: DD488000 00084454
	s_setvskip 0, 0                                            // 000000007D88: BF108080
	s_setvskip s20, 2                                          // 000000007D8C: BF108214
	global_atomic_pk_add_bf16 v84, v69, s[8:9] offset:256      // 000000007D90: DD488100 00084554
	s_setvskip 0, 0                                            // 000000007D98: BF108080
	s_setvskip s20, 3                                          // 000000007D9C: BF108314
	global_atomic_pk_add_bf16 v86, v70, s[8:9]                 // 000000007DA0: DD488000 00084656
	s_setvskip 0, 0                                            // 000000007DA8: BF108080
	s_setvskip s20, 3                                          // 000000007DAC: BF108314
	global_atomic_pk_add_bf16 v86, v71, s[8:9] offset:256      // 000000007DB0: DD488100 00084756
	s_setvskip 0, 0                                            // 000000007DB8: BF108080
	s_add_u32 s8, s59, s8                                      // 000000007DBC: 8008083B
	s_addc_u32 s9, 0, s9                                       // 000000007DC0: 82090980
	s_addk_i32 s80, 0x100                                      // 000000007DC4: B7500100
	s_cmp_lt_i32 s80, s81                                      // 000000007DC8: BF045150
	s_cbranch_scc0 label_0CAD                                  // 000000007DCC: BF84F8B9
	s_waitcnt vmcnt(29) lgkmcnt(0)                             // 000000007DD0: BF8C407D
	s_barrier                                                  // 000000007DD4: BF8A0000
	v_mfma_f32_16x16x128_f8f6f4 v[176:179], a[0:7], v[128:135], 0// 000000007DD8: D3AD00B0 0A030100
	buffer_load_dword v21, v6, s[16:19], 0 offen               // 000000007DE0: E0501000 80041506
	buffer_load_dwordx4 a[128:131], v37, s[12:15], 0 offen     // 000000007DE8: E05C1000 80838025
	buffer_load_dwordx4 a[132:135], v37, s[12:15], 0 offen offset:1024// 000000007DF0: E05C1400 80838425
	buffer_load_dwordx4 a[136:139], v38, s[12:15], 0 offen     // 000000007DF8: E05C1000 80838826
	buffer_load_dwordx4 a[140:143], v38, s[12:15], 0 offen offset:1024// 000000007E00: E05C1400 80838C26
	v_mfma_f32_16x16x128_f8f6f4 v[180:183], a[8:15], v[128:135], 0// 000000007E08: D3AD00B4 0A030108
	ds_read_b32 v64, v5 offset:29184                           // 000000007E10: D86C7200 40000005
	ds_read_b32 v65, v5 offset:33536                           // 000000007E18: D86C8300 41000005
	ds_read_b32 v66, v5 offset:29192                           // 000000007E20: D86C7208 42000005
	ds_read_b32 v67, v5 offset:33544                           // 000000007E28: D86C8308 43000005
	ds_read_b32 v68, v5 offset:29216                           // 000000007E30: D86C7220 44000005
	ds_read_b32 v69, v5 offset:33568                           // 000000007E38: D86C8320 45000005
	ds_read_b32 v70, v5 offset:29224                           // 000000007E40: D86C7228 46000005
	ds_read_b32 v71, v5 offset:33576                           // 000000007E48: D86C8328 47000005
	s_waitcnt vmcnt(29)                                        // 000000007E50: BF8C4F7D
	v_mfma_f32_16x16x128_f8f6f4 v[184:187], a[16:23], v[128:135], 0// 000000007E54: D3AD00B8 0A030110
	buffer_load_dwordx4 a[144:147], v39, s[12:15], 0 offen     // 000000007E5C: E05C1000 80839027
	buffer_load_dwordx4 a[148:151], v39, s[12:15], 0 offen offset:1024// 000000007E64: E05C1400 80839427
	buffer_load_dwordx4 a[152:155], v40, s[12:15], 0 offen     // 000000007E6C: E05C1000 80839828
	buffer_load_dwordx4 a[156:159], v40, s[12:15], 0 offen offset:1024// 000000007E74: E05C1400 80839C28
	s_add_u32 s12, s78, s12                                    // 000000007E7C: 800C0C4E
	s_addc_u32 s13, 0, s13                                     // 000000007E80: 820D0D80
	v_mfma_f32_16x16x128_f8f6f4 v[188:191], a[24:31], v[128:135], 0// 000000007E84: D3AD00BC 0A030118
	v_mul_f32_dpp v46, v19, v28 row_newbcast:0 row_mask:0xf bank_mask:0xf// 000000007E8C: 0A5C38FA FF015013
	v_mov_b32_e32 v47, v46                                     // 000000007E94: 7E5E032E
	v_pk_mul_f32 v[176:177], v[46:47], v[176:177]              // 000000007E98: D3B140B0 1803612E
	v_pk_mul_f32 v[178:179], v[46:47], v[178:179]              // 000000007EA0: D3B140B2 1803652E
	v_pk_mul_f32 v[180:181], v[46:47], v[180:181]              // 000000007EA8: D3B140B4 1803692E
	v_pk_mul_f32 v[182:183], v[46:47], v[182:183]              // 000000007EB0: D3B140B6 18036D2E
	v_mul_f32_dpp v46, v19, v28 row_newbcast:1 row_mask:0xf bank_mask:0xf// 000000007EB8: 0A5C38FA FF015113
	v_mov_b32_e32 v47, v46                                     // 000000007EC0: 7E5E032E
	v_pk_mul_f32 v[184:185], v[46:47], v[184:185]              // 000000007EC4: D3B140B8 1803712E
	v_pk_mul_f32 v[186:187], v[46:47], v[186:187]              // 000000007ECC: D3B140BA 1803752E
	v_pk_mul_f32 v[188:189], v[46:47], v[188:189]              // 000000007ED4: D3B140BC 1803792E
	v_pk_mul_f32 v[190:191], v[46:47], v[190:191]              // 000000007EDC: D3B140BE 18037D2E
	s_waitcnt vmcnt(29)                                        // 000000007EE4: BF8C4F7D
	v_mfma_f32_16x16x128_f8f6f4 v[144:147], a[32:39], v[136:143], 0// 000000007EE8: D3AD0090 0A031120
	buffer_load_dwordx4 a[160:163], v37, s[12:15], 0 offen     // 000000007EF0: E05C1000 8083A025
	buffer_load_dwordx4 a[164:167], v37, s[12:15], 0 offen offset:1024// 000000007EF8: E05C1400 8083A425
	buffer_load_dwordx4 a[168:171], v38, s[12:15], 0 offen     // 000000007F00: E05C1000 8083A826
	buffer_load_dwordx4 a[172:175], v38, s[12:15], 0 offen offset:1024// 000000007F08: E05C1400 8083AC26
	v_mfma_f32_16x16x128_f8f6f4 v[148:151], a[40:47], v[136:143], 0// 000000007F10: D3AD0094 0A031128
	ds_write_b64 v4, v[160:161] offset:11776                   // 000000007F18: D89A2E00 0000A004
	ds_write_b64 v4, v[162:163] offset:13952                   // 000000007F20: D89A3680 0000A204
	ds_write_b64 v4, v[164:165] offset:16128                   // 000000007F28: D89A3F00 0000A404
	ds_write_b64 v4, v[166:167] offset:18304                   // 000000007F30: D89A4780 0000A604
	s_waitcnt vmcnt(29)                                        // 000000007F38: BF8C4F7D
	v_mfma_f32_16x16x128_f8f6f4 v[152:155], a[48:55], v[136:143], 0// 000000007F3C: D3AD0098 0A031130
	buffer_load_dwordx4 a[176:179], v39, s[12:15], 0 offen     // 000000007F44: E05C1000 8083B027
	buffer_load_dwordx4 a[180:183], v39, s[12:15], 0 offen offset:1024// 000000007F4C: E05C1400 8083B427
	buffer_load_dwordx4 a[184:187], v40, s[12:15], 0 offen     // 000000007F54: E05C1000 8083B828
	buffer_load_dwordx4 a[188:191], v40, s[12:15], 0 offen offset:1024// 000000007F5C: E05C1400 8083BC28
	v_mfma_f32_16x16x128_f8f6f4 v[156:159], a[56:63], v[136:143], 0// 000000007F64: D3AD009C 0A031138
	v_mul_f32_dpp v46, v19, v29 row_newbcast:2 row_mask:0xf bank_mask:0xf// 000000007F6C: 0A5C3AFA FF015213
	v_mov_b32_e32 v47, v46                                     // 000000007F74: 7E5E032E
	v_pk_fma_f32 v[176:177], v[144:145], v[46:47], v[176:177]  // 000000007F78: D3B040B0 1EC25D90
	v_pk_fma_f32 v[178:179], v[146:147], v[46:47], v[178:179]  // 000000007F80: D3B040B2 1ECA5D92
	v_pk_fma_f32 v[180:181], v[148:149], v[46:47], v[180:181]  // 000000007F88: D3B040B4 1ED25D94
	v_pk_fma_f32 v[182:183], v[150:151], v[46:47], v[182:183]  // 000000007F90: D3B040B6 1EDA5D96
	v_mul_f32_dpp v46, v19, v29 row_newbcast:3 row_mask:0xf bank_mask:0xf// 000000007F98: 0A5C3AFA FF015313
	v_mov_b32_e32 v47, v46                                     // 000000007FA0: 7E5E032E
	v_pk_fma_f32 v[184:185], v[152:153], v[46:47], v[184:185]  // 000000007FA4: D3B040B8 1EE25D98
	v_pk_fma_f32 v[186:187], v[154:155], v[46:47], v[186:187]  // 000000007FAC: D3B040BA 1EEA5D9A
	v_pk_fma_f32 v[188:189], v[156:157], v[46:47], v[188:189]  // 000000007FB4: D3B040BC 1EF25D9C
	v_pk_fma_f32 v[190:191], v[158:159], v[46:47], v[190:191]  // 000000007FBC: D3B040BE 1EFA5D9E
	s_add_u32 s60, 0x300, s80                                  // 000000007FC4: 803C50FF 00000300
	s_cmp_lt_u32 s60, s81                                      // 000000007FCC: BF0A513C
	s_cselect_b32 s56, s56, 0                                  // 000000007FD0: 85388038
	s_cselect_b32 s78, s78, 0                                  // 000000007FD4: 854E804E
	s_cselect_b32 s79, s79, 0                                  // 000000007FD8: 854F804F
	s_add_u32 s12, s56, s12                                    // 000000007FDC: 800C0C38
	s_addc_u32 s13, 0, s13                                     // 000000007FE0: 820D0D80
	s_add_u32 s16, s79, s16                                    // 000000007FE4: 8010104F
	s_addc_u32 s17, 0, s17                                     // 000000007FE8: 82111180
	v_mov_b32_e32 v46, v23                                     // 000000007FEC: 7E5C0317
	v_mov_b32_e32 v47, v23                                     // 000000007FF0: 7E5E0317
	v_pk_mul_f32 v[176:177], v[46:47], v[176:177]              // 000000007FF4: D3B140B0 1803612E
	v_pk_mul_f32 v[178:179], v[46:47], v[178:179]              // 000000007FFC: D3B140B2 1803652E
	v_pk_mul_f32 v[180:181], v[46:47], v[180:181]              // 000000008004: D3B140B4 1803692E
	v_pk_mul_f32 v[182:183], v[46:47], v[182:183]              // 00000000800C: D3B140B6 18036D2E
	v_pk_mul_f32 v[184:185], v[46:47], v[184:185]              // 000000008014: D3B140B8 1803712E
	v_pk_mul_f32 v[186:187], v[46:47], v[186:187]              // 00000000801C: D3B140BA 1803752E
	v_pk_mul_f32 v[188:189], v[46:47], v[188:189]              // 000000008024: D3B140BC 1803792E
	v_pk_mul_f32 v[190:191], v[46:47], v[190:191]              // 00000000802C: D3B140BE 18037D2E
	v_cvt_pk_bf16_f32 v176, v176, v177                         // 000000008034: D26800B0 000363B0
	v_cvt_pk_bf16_f32 v177, v178, v179                         // 00000000803C: D26800B1 000367B2
	v_cvt_pk_bf16_f32 v178, v180, v181                         // 000000008044: D26800B2 00036BB4
	v_cvt_pk_bf16_f32 v179, v182, v183                         // 00000000804C: D26800B3 00036FB6
	v_cvt_pk_bf16_f32 v180, v184, v185                         // 000000008054: D26800B4 000373B8
	v_cvt_pk_bf16_f32 v181, v186, v187                         // 00000000805C: D26800B5 000377BA
	v_cvt_pk_bf16_f32 v182, v188, v189                         // 000000008064: D26800B6 00037BBC
	v_cvt_pk_bf16_f32 v183, v190, v191                         // 00000000806C: D26800B7 00037FBE
	s_cmp_ge_u32 s80, 0x200                                    // 000000008074: BF09FF50 00000200
	s_cselect_b32 s59, 0x200, s59                              // 00000000807C: 853B3BFF 00000200
	s_waitcnt lgkmcnt(0)                                       // 000000008084: BF8CC07F
	s_barrier                                                  // 000000008088: BF8A0000
	s_setvskip s20, 0                                          // 00000000808C: BF108014
	global_atomic_pk_add_bf16 v80, v64, s[8:9]                 // 000000008090: DD488000 00084050
	s_setvskip 0, 0                                            // 000000008098: BF108080
	s_setvskip s20, 0                                          // 00000000809C: BF108014
	global_atomic_pk_add_bf16 v80, v65, s[8:9] offset:256      // 0000000080A0: DD488100 00084150
	s_setvskip 0, 0                                            // 0000000080A8: BF108080
	s_setvskip s20, 1                                          // 0000000080AC: BF108114
	global_atomic_pk_add_bf16 v82, v66, s[8:9]                 // 0000000080B0: DD488000 00084252
	s_setvskip 0, 0                                            // 0000000080B8: BF108080
	s_setvskip s20, 1                                          // 0000000080BC: BF108114
	global_atomic_pk_add_bf16 v82, v67, s[8:9] offset:256      // 0000000080C0: DD488100 00084352
	s_setvskip 0, 0                                            // 0000000080C8: BF108080
	s_setvskip s20, 2                                          // 0000000080CC: BF108214
	global_atomic_pk_add_bf16 v84, v68, s[8:9]                 // 0000000080D0: DD488000 00084454
	s_setvskip 0, 0                                            // 0000000080D8: BF108080
	s_setvskip s20, 2                                          // 0000000080DC: BF108214
	global_atomic_pk_add_bf16 v84, v69, s[8:9] offset:256      // 0000000080E0: DD488100 00084554
	s_setvskip 0, 0                                            // 0000000080E8: BF108080
	s_setvskip s20, 3                                          // 0000000080EC: BF108314
	global_atomic_pk_add_bf16 v86, v70, s[8:9]                 // 0000000080F0: DD488000 00084656
	s_setvskip 0, 0                                            // 0000000080F8: BF108080
	s_setvskip s20, 3                                          // 0000000080FC: BF108314
	global_atomic_pk_add_bf16 v86, v71, s[8:9] offset:256      // 000000008100: DD488100 00084756
	s_setvskip 0, 0                                            // 000000008108: BF108080
	s_add_u32 s8, s59, s8                                      // 00000000810C: 8008083B
	s_addc_u32 s9, 0, s9                                       // 000000008110: 82090980
	s_addk_i32 s80, 0x100                                      // 000000008114: B7500100
	s_cmp_lt_i32 s80, s81                                      // 000000008118: BF045150
	s_cbranch_scc0 label_0CAD                                  // 00000000811C: BF84F7E5
	s_waitcnt vmcnt(29) lgkmcnt(0)                             // 000000008120: BF8C407D
	s_barrier                                                  // 000000008124: BF8A0000
	v_mfma_f32_16x16x128_f8f6f4 v[160:163], a[64:71], v[128:135], 0// 000000008128: D3AD00A0 0A030140
	buffer_load_dword v19, v6, s[16:19], 0 offen               // 000000008130: E0501000 80041306
	buffer_load_dwordx4 a[0:3], v37, s[12:15], 0 offen         // 000000008138: E05C1000 80830025
	buffer_load_dwordx4 a[4:7], v37, s[12:15], 0 offen offset:1024// 000000008140: E05C1400 80830425
	buffer_load_dwordx4 a[8:11], v38, s[12:15], 0 offen        // 000000008148: E05C1000 80830826
	buffer_load_dwordx4 a[12:15], v38, s[12:15], 0 offen offset:1024// 000000008150: E05C1400 80830C26
	v_mfma_f32_16x16x128_f8f6f4 v[164:167], a[72:79], v[128:135], 0// 000000008158: D3AD00A4 0A030148
	ds_read_b32 v64, v5 offset:11776                           // 000000008160: D86C2E00 40000005
	ds_read_b32 v65, v5 offset:16128                           // 000000008168: D86C3F00 41000005
	ds_read_b32 v66, v5 offset:11784                           // 000000008170: D86C2E08 42000005
	ds_read_b32 v67, v5 offset:16136                           // 000000008178: D86C3F08 43000005
	ds_read_b32 v68, v5 offset:11808                           // 000000008180: D86C2E20 44000005
	ds_read_b32 v69, v5 offset:16160                           // 000000008188: D86C3F20 45000005
	ds_read_b32 v70, v5 offset:11816                           // 000000008190: D86C2E28 46000005
	ds_read_b32 v71, v5 offset:16168                           // 000000008198: D86C3F28 47000005
	s_waitcnt vmcnt(29)                                        // 0000000081A0: BF8C4F7D
	v_mfma_f32_16x16x128_f8f6f4 v[168:171], a[80:87], v[128:135], 0// 0000000081A4: D3AD00A8 0A030150
	buffer_load_dwordx4 a[16:19], v39, s[12:15], 0 offen       // 0000000081AC: E05C1000 80831027
	buffer_load_dwordx4 a[20:23], v39, s[12:15], 0 offen offset:1024// 0000000081B4: E05C1400 80831427
	buffer_load_dwordx4 a[24:27], v40, s[12:15], 0 offen       // 0000000081BC: E05C1000 80831828
	buffer_load_dwordx4 a[28:31], v40, s[12:15], 0 offen offset:1024// 0000000081C4: E05C1400 80831C28
	s_add_u32 s12, s78, s12                                    // 0000000081CC: 800C0C4E
	s_addc_u32 s13, 0, s13                                     // 0000000081D0: 820D0D80
	v_mfma_f32_16x16x128_f8f6f4 v[172:175], a[88:95], v[128:135], 0// 0000000081D4: D3AD00AC 0A030158
	v_mul_f32_dpp v46, v20, v28 row_newbcast:0 row_mask:0xf bank_mask:0xf// 0000000081DC: 0A5C38FA FF015014
	v_mov_b32_e32 v47, v46                                     // 0000000081E4: 7E5E032E
	v_pk_mul_f32 v[160:161], v[46:47], v[160:161]              // 0000000081E8: D3B140A0 1803412E
	v_pk_mul_f32 v[162:163], v[46:47], v[162:163]              // 0000000081F0: D3B140A2 1803452E
	v_pk_mul_f32 v[164:165], v[46:47], v[164:165]              // 0000000081F8: D3B140A4 1803492E
	v_pk_mul_f32 v[166:167], v[46:47], v[166:167]              // 000000008200: D3B140A6 18034D2E
	v_mul_f32_dpp v46, v20, v28 row_newbcast:1 row_mask:0xf bank_mask:0xf// 000000008208: 0A5C38FA FF015114
	v_mov_b32_e32 v47, v46                                     // 000000008210: 7E5E032E
	v_pk_mul_f32 v[168:169], v[46:47], v[168:169]              // 000000008214: D3B140A8 1803512E
	v_pk_mul_f32 v[170:171], v[46:47], v[170:171]              // 00000000821C: D3B140AA 1803552E
	v_pk_mul_f32 v[172:173], v[46:47], v[172:173]              // 000000008224: D3B140AC 1803592E
	v_pk_mul_f32 v[174:175], v[46:47], v[174:175]              // 00000000822C: D3B140AE 18035D2E
	s_waitcnt vmcnt(29)                                        // 000000008234: BF8C4F7D
	v_mfma_f32_16x16x128_f8f6f4 v[144:147], a[96:103], v[136:143], 0// 000000008238: D3AD0090 0A031160
	buffer_load_dwordx4 a[32:35], v37, s[12:15], 0 offen       // 000000008240: E05C1000 80832025
	buffer_load_dwordx4 a[36:39], v37, s[12:15], 0 offen offset:1024// 000000008248: E05C1400 80832425
	buffer_load_dwordx4 a[40:43], v38, s[12:15], 0 offen       // 000000008250: E05C1000 80832826
	buffer_load_dwordx4 a[44:47], v38, s[12:15], 0 offen offset:1024// 000000008258: E05C1400 80832C26
	v_mfma_f32_16x16x128_f8f6f4 v[148:151], a[104:111], v[136:143], 0// 000000008260: D3AD0094 0A031168
	ds_write_b64 v4, v[176:177] offset:29184                   // 000000008268: D89A7200 0000B004
	ds_write_b64 v4, v[178:179] offset:31360                   // 000000008270: D89A7A80 0000B204
	ds_write_b64 v4, v[180:181] offset:33536                   // 000000008278: D89A8300 0000B404
	ds_write_b64 v4, v[182:183] offset:35712                   // 000000008280: D89A8B80 0000B604
	s_waitcnt vmcnt(29)                                        // 000000008288: BF8C4F7D
	v_mfma_f32_16x16x128_f8f6f4 v[152:155], a[112:119], v[136:143], 0// 00000000828C: D3AD0098 0A031170
	buffer_load_dwordx4 a[48:51], v39, s[12:15], 0 offen       // 000000008294: E05C1000 80833027
	buffer_load_dwordx4 a[52:55], v39, s[12:15], 0 offen offset:1024// 00000000829C: E05C1400 80833427
	buffer_load_dwordx4 a[56:59], v40, s[12:15], 0 offen       // 0000000082A4: E05C1000 80833828
	buffer_load_dwordx4 a[60:63], v40, s[12:15], 0 offen offset:1024// 0000000082AC: E05C1400 80833C28
	v_mfma_f32_16x16x128_f8f6f4 v[156:159], a[120:127], v[136:143], 0// 0000000082B4: D3AD009C 0A031178
	v_mul_f32_dpp v46, v20, v29 row_newbcast:2 row_mask:0xf bank_mask:0xf// 0000000082BC: 0A5C3AFA FF015214
	v_mov_b32_e32 v47, v46                                     // 0000000082C4: 7E5E032E
	v_pk_fma_f32 v[160:161], v[144:145], v[46:47], v[160:161]  // 0000000082C8: D3B040A0 1E825D90
	v_pk_fma_f32 v[162:163], v[146:147], v[46:47], v[162:163]  // 0000000082D0: D3B040A2 1E8A5D92
	v_pk_fma_f32 v[164:165], v[148:149], v[46:47], v[164:165]  // 0000000082D8: D3B040A4 1E925D94
	v_pk_fma_f32 v[166:167], v[150:151], v[46:47], v[166:167]  // 0000000082E0: D3B040A6 1E9A5D96
	v_mul_f32_dpp v46, v20, v29 row_newbcast:3 row_mask:0xf bank_mask:0xf// 0000000082E8: 0A5C3AFA FF015314
	v_mov_b32_e32 v47, v46                                     // 0000000082F0: 7E5E032E
	v_pk_fma_f32 v[168:169], v[152:153], v[46:47], v[168:169]  // 0000000082F4: D3B040A8 1EA25D98
	v_pk_fma_f32 v[170:171], v[154:155], v[46:47], v[170:171]  // 0000000082FC: D3B040AA 1EAA5D9A
	v_pk_fma_f32 v[172:173], v[156:157], v[46:47], v[172:173]  // 000000008304: D3B040AC 1EB25D9C
	v_pk_fma_f32 v[174:175], v[158:159], v[46:47], v[174:175]  // 00000000830C: D3B040AE 1EBA5D9E
	s_add_u32 s60, 0x300, s80                                  // 000000008314: 803C50FF 00000300
	s_cmp_lt_u32 s60, s81                                      // 00000000831C: BF0A513C
	s_cselect_b32 s56, s56, 0                                  // 000000008320: 85388038
	s_cselect_b32 s78, s78, 0                                  // 000000008324: 854E804E
	s_cselect_b32 s79, s79, 0                                  // 000000008328: 854F804F
	s_add_u32 s12, s56, s12                                    // 00000000832C: 800C0C38
	s_addc_u32 s13, 0, s13                                     // 000000008330: 820D0D80
	s_add_u32 s16, s79, s16                                    // 000000008334: 8010104F
	s_addc_u32 s17, 0, s17                                     // 000000008338: 82111180
	v_mov_b32_e32 v46, v23                                     // 00000000833C: 7E5C0317
	v_mov_b32_e32 v47, v23                                     // 000000008340: 7E5E0317
	v_pk_mul_f32 v[160:161], v[46:47], v[160:161]              // 000000008344: D3B140A0 1803412E
	v_pk_mul_f32 v[162:163], v[46:47], v[162:163]              // 00000000834C: D3B140A2 1803452E
	v_pk_mul_f32 v[164:165], v[46:47], v[164:165]              // 000000008354: D3B140A4 1803492E
	v_pk_mul_f32 v[166:167], v[46:47], v[166:167]              // 00000000835C: D3B140A6 18034D2E
	v_pk_mul_f32 v[168:169], v[46:47], v[168:169]              // 000000008364: D3B140A8 1803512E
	v_pk_mul_f32 v[170:171], v[46:47], v[170:171]              // 00000000836C: D3B140AA 1803552E
	v_pk_mul_f32 v[172:173], v[46:47], v[172:173]              // 000000008374: D3B140AC 1803592E
	v_pk_mul_f32 v[174:175], v[46:47], v[174:175]              // 00000000837C: D3B140AE 18035D2E
	v_cvt_pk_bf16_f32 v160, v160, v161                         // 000000008384: D26800A0 000343A0
	v_cvt_pk_bf16_f32 v161, v162, v163                         // 00000000838C: D26800A1 000347A2
	v_cvt_pk_bf16_f32 v162, v164, v165                         // 000000008394: D26800A2 00034BA4
	v_cvt_pk_bf16_f32 v163, v166, v167                         // 00000000839C: D26800A3 00034FA6
	v_cvt_pk_bf16_f32 v164, v168, v169                         // 0000000083A4: D26800A4 000353A8
	v_cvt_pk_bf16_f32 v165, v170, v171                         // 0000000083AC: D26800A5 000357AA
	v_cvt_pk_bf16_f32 v166, v172, v173                         // 0000000083B4: D26800A6 00035BAC
	v_cvt_pk_bf16_f32 v167, v174, v175                         // 0000000083BC: D26800A7 00035FAE
	s_cmp_ge_u32 s80, 0x200                                    // 0000000083C4: BF09FF50 00000200
	s_cselect_b32 s59, 0x200, s59                              // 0000000083CC: 853B3BFF 00000200
	s_waitcnt lgkmcnt(0)                                       // 0000000083D4: BF8CC07F
	s_barrier                                                  // 0000000083D8: BF8A0000
	s_setvskip s20, 0                                          // 0000000083DC: BF108014
	global_atomic_pk_add_bf16 v80, v64, s[8:9]                 // 0000000083E0: DD488000 00084050
	s_setvskip 0, 0                                            // 0000000083E8: BF108080
	s_setvskip s20, 0                                          // 0000000083EC: BF108014
	global_atomic_pk_add_bf16 v80, v65, s[8:9] offset:256      // 0000000083F0: DD488100 00084150
	s_setvskip 0, 0                                            // 0000000083F8: BF108080
	s_setvskip s20, 1                                          // 0000000083FC: BF108114
	global_atomic_pk_add_bf16 v82, v66, s[8:9]                 // 000000008400: DD488000 00084252
	s_setvskip 0, 0                                            // 000000008408: BF108080
	s_setvskip s20, 1                                          // 00000000840C: BF108114
	global_atomic_pk_add_bf16 v82, v67, s[8:9] offset:256      // 000000008410: DD488100 00084352
	s_setvskip 0, 0                                            // 000000008418: BF108080
	s_setvskip s20, 2                                          // 00000000841C: BF108214
	global_atomic_pk_add_bf16 v84, v68, s[8:9]                 // 000000008420: DD488000 00084454
	s_setvskip 0, 0                                            // 000000008428: BF108080
	s_setvskip s20, 2                                          // 00000000842C: BF108214
	global_atomic_pk_add_bf16 v84, v69, s[8:9] offset:256      // 000000008430: DD488100 00084554
	s_setvskip 0, 0                                            // 000000008438: BF108080
	s_setvskip s20, 3                                          // 00000000843C: BF108314
	global_atomic_pk_add_bf16 v86, v70, s[8:9]                 // 000000008440: DD488000 00084656
	s_setvskip 0, 0                                            // 000000008448: BF108080
	s_setvskip s20, 3                                          // 00000000844C: BF108314
	global_atomic_pk_add_bf16 v86, v71, s[8:9] offset:256      // 000000008450: DD488100 00084756
	s_setvskip 0, 0                                            // 000000008458: BF108080
	s_add_u32 s8, s59, s8                                      // 00000000845C: 8008083B
	s_addc_u32 s9, 0, s9                                       // 000000008460: 82090980
	s_addk_i32 s80, 0x100                                      // 000000008464: B7500100
	s_cmp_lt_i32 s80, s81                                      // 000000008468: BF045150
	s_cbranch_scc0 label_0CAD                                  // 00000000846C: BF84F711
	s_waitcnt vmcnt(29) lgkmcnt(0)                             // 000000008470: BF8C407D
	s_barrier                                                  // 000000008474: BF8A0000
	v_mfma_f32_16x16x128_f8f6f4 v[176:179], a[128:135], v[128:135], 0// 000000008478: D3AD00B0 0A030180
	buffer_load_dword v20, v6, s[16:19], 0 offen               // 000000008480: E0501000 80041406
	buffer_load_dwordx4 a[64:67], v37, s[12:15], 0 offen       // 000000008488: E05C1000 80834025
	buffer_load_dwordx4 a[68:71], v37, s[12:15], 0 offen offset:1024// 000000008490: E05C1400 80834425
	buffer_load_dwordx4 a[72:75], v38, s[12:15], 0 offen       // 000000008498: E05C1000 80834826
	buffer_load_dwordx4 a[76:79], v38, s[12:15], 0 offen offset:1024// 0000000084A0: E05C1400 80834C26
	v_mfma_f32_16x16x128_f8f6f4 v[180:183], a[136:143], v[128:135], 0// 0000000084A8: D3AD00B4 0A030188
	ds_read_b32 v64, v5 offset:29184                           // 0000000084B0: D86C7200 40000005
	ds_read_b32 v65, v5 offset:33536                           // 0000000084B8: D86C8300 41000005
	ds_read_b32 v66, v5 offset:29192                           // 0000000084C0: D86C7208 42000005
	ds_read_b32 v67, v5 offset:33544                           // 0000000084C8: D86C8308 43000005
	ds_read_b32 v68, v5 offset:29216                           // 0000000084D0: D86C7220 44000005
	ds_read_b32 v69, v5 offset:33568                           // 0000000084D8: D86C8320 45000005
	ds_read_b32 v70, v5 offset:29224                           // 0000000084E0: D86C7228 46000005
	ds_read_b32 v71, v5 offset:33576                           // 0000000084E8: D86C8328 47000005
	s_waitcnt vmcnt(29)                                        // 0000000084F0: BF8C4F7D
	v_mfma_f32_16x16x128_f8f6f4 v[184:187], a[144:151], v[128:135], 0// 0000000084F4: D3AD00B8 0A030190
	buffer_load_dwordx4 a[80:83], v39, s[12:15], 0 offen       // 0000000084FC: E05C1000 80835027
	buffer_load_dwordx4 a[84:87], v39, s[12:15], 0 offen offset:1024// 000000008504: E05C1400 80835427
	buffer_load_dwordx4 a[88:91], v40, s[12:15], 0 offen       // 00000000850C: E05C1000 80835828
	buffer_load_dwordx4 a[92:95], v40, s[12:15], 0 offen offset:1024// 000000008514: E05C1400 80835C28
	s_add_u32 s12, s78, s12                                    // 00000000851C: 800C0C4E
	s_addc_u32 s13, 0, s13                                     // 000000008520: 820D0D80
	v_mfma_f32_16x16x128_f8f6f4 v[188:191], a[152:159], v[128:135], 0// 000000008524: D3AD00BC 0A030198
	v_mul_f32_dpp v46, v21, v28 row_newbcast:0 row_mask:0xf bank_mask:0xf// 00000000852C: 0A5C38FA FF015015
	v_mov_b32_e32 v47, v46                                     // 000000008534: 7E5E032E
	v_pk_mul_f32 v[176:177], v[46:47], v[176:177]              // 000000008538: D3B140B0 1803612E
	v_pk_mul_f32 v[178:179], v[46:47], v[178:179]              // 000000008540: D3B140B2 1803652E
	v_pk_mul_f32 v[180:181], v[46:47], v[180:181]              // 000000008548: D3B140B4 1803692E
	v_pk_mul_f32 v[182:183], v[46:47], v[182:183]              // 000000008550: D3B140B6 18036D2E
	v_mul_f32_dpp v46, v21, v28 row_newbcast:1 row_mask:0xf bank_mask:0xf// 000000008558: 0A5C38FA FF015115
	v_mov_b32_e32 v47, v46                                     // 000000008560: 7E5E032E
	v_pk_mul_f32 v[184:185], v[46:47], v[184:185]              // 000000008564: D3B140B8 1803712E
	v_pk_mul_f32 v[186:187], v[46:47], v[186:187]              // 00000000856C: D3B140BA 1803752E
	v_pk_mul_f32 v[188:189], v[46:47], v[188:189]              // 000000008574: D3B140BC 1803792E
	v_pk_mul_f32 v[190:191], v[46:47], v[190:191]              // 00000000857C: D3B140BE 18037D2E
	s_waitcnt vmcnt(29)                                        // 000000008584: BF8C4F7D
	v_mfma_f32_16x16x128_f8f6f4 v[144:147], a[160:167], v[136:143], 0// 000000008588: D3AD0090 0A0311A0
	buffer_load_dwordx4 a[96:99], v37, s[12:15], 0 offen       // 000000008590: E05C1000 80836025
	buffer_load_dwordx4 a[100:103], v37, s[12:15], 0 offen offset:1024// 000000008598: E05C1400 80836425
	buffer_load_dwordx4 a[104:107], v38, s[12:15], 0 offen     // 0000000085A0: E05C1000 80836826
	buffer_load_dwordx4 a[108:111], v38, s[12:15], 0 offen offset:1024// 0000000085A8: E05C1400 80836C26
	v_mfma_f32_16x16x128_f8f6f4 v[148:151], a[168:175], v[136:143], 0// 0000000085B0: D3AD0094 0A0311A8
	ds_write_b64 v4, v[160:161] offset:11776                   // 0000000085B8: D89A2E00 0000A004
	ds_write_b64 v4, v[162:163] offset:13952                   // 0000000085C0: D89A3680 0000A204
	ds_write_b64 v4, v[164:165] offset:16128                   // 0000000085C8: D89A3F00 0000A404
	ds_write_b64 v4, v[166:167] offset:18304                   // 0000000085D0: D89A4780 0000A604
	s_waitcnt vmcnt(29)                                        // 0000000085D8: BF8C4F7D
	v_mfma_f32_16x16x128_f8f6f4 v[152:155], a[176:183], v[136:143], 0// 0000000085DC: D3AD0098 0A0311B0
	buffer_load_dwordx4 a[112:115], v39, s[12:15], 0 offen     // 0000000085E4: E05C1000 80837027
	buffer_load_dwordx4 a[116:119], v39, s[12:15], 0 offen offset:1024// 0000000085EC: E05C1400 80837427
	buffer_load_dwordx4 a[120:123], v40, s[12:15], 0 offen     // 0000000085F4: E05C1000 80837828
	buffer_load_dwordx4 a[124:127], v40, s[12:15], 0 offen offset:1024// 0000000085FC: E05C1400 80837C28
	v_mfma_f32_16x16x128_f8f6f4 v[156:159], a[184:191], v[136:143], 0// 000000008604: D3AD009C 0A0311B8
	v_mul_f32_dpp v46, v21, v29 row_newbcast:2 row_mask:0xf bank_mask:0xf// 00000000860C: 0A5C3AFA FF015215
	v_mov_b32_e32 v47, v46                                     // 000000008614: 7E5E032E
	v_pk_fma_f32 v[176:177], v[144:145], v[46:47], v[176:177]  // 000000008618: D3B040B0 1EC25D90
	v_pk_fma_f32 v[178:179], v[146:147], v[46:47], v[178:179]  // 000000008620: D3B040B2 1ECA5D92
	v_pk_fma_f32 v[180:181], v[148:149], v[46:47], v[180:181]  // 000000008628: D3B040B4 1ED25D94
	v_pk_fma_f32 v[182:183], v[150:151], v[46:47], v[182:183]  // 000000008630: D3B040B6 1EDA5D96
	v_mul_f32_dpp v46, v21, v29 row_newbcast:3 row_mask:0xf bank_mask:0xf// 000000008638: 0A5C3AFA FF015315
	v_mov_b32_e32 v47, v46                                     // 000000008640: 7E5E032E
	v_pk_fma_f32 v[184:185], v[152:153], v[46:47], v[184:185]  // 000000008644: D3B040B8 1EE25D98
	v_pk_fma_f32 v[186:187], v[154:155], v[46:47], v[186:187]  // 00000000864C: D3B040BA 1EEA5D9A
	v_pk_fma_f32 v[188:189], v[156:157], v[46:47], v[188:189]  // 000000008654: D3B040BC 1EF25D9C
	v_pk_fma_f32 v[190:191], v[158:159], v[46:47], v[190:191]  // 00000000865C: D3B040BE 1EFA5D9E
	s_add_u32 s60, 0x300, s80                                  // 000000008664: 803C50FF 00000300
	s_cmp_lt_u32 s60, s81                                      // 00000000866C: BF0A513C
	s_cselect_b32 s56, s56, 0                                  // 000000008670: 85388038
	s_cselect_b32 s78, s78, 0                                  // 000000008674: 854E804E
	s_cselect_b32 s79, s79, 0                                  // 000000008678: 854F804F
	s_add_u32 s12, s56, s12                                    // 00000000867C: 800C0C38
	s_addc_u32 s13, 0, s13                                     // 000000008680: 820D0D80
	s_add_u32 s16, s79, s16                                    // 000000008684: 8010104F
	s_addc_u32 s17, 0, s17                                     // 000000008688: 82111180
	v_mov_b32_e32 v46, v23                                     // 00000000868C: 7E5C0317
	v_mov_b32_e32 v47, v23                                     // 000000008690: 7E5E0317
	v_pk_mul_f32 v[176:177], v[46:47], v[176:177]              // 000000008694: D3B140B0 1803612E
	v_pk_mul_f32 v[178:179], v[46:47], v[178:179]              // 00000000869C: D3B140B2 1803652E
	v_pk_mul_f32 v[180:181], v[46:47], v[180:181]              // 0000000086A4: D3B140B4 1803692E
	v_pk_mul_f32 v[182:183], v[46:47], v[182:183]              // 0000000086AC: D3B140B6 18036D2E
	v_pk_mul_f32 v[184:185], v[46:47], v[184:185]              // 0000000086B4: D3B140B8 1803712E
	v_pk_mul_f32 v[186:187], v[46:47], v[186:187]              // 0000000086BC: D3B140BA 1803752E
	v_pk_mul_f32 v[188:189], v[46:47], v[188:189]              // 0000000086C4: D3B140BC 1803792E
	v_pk_mul_f32 v[190:191], v[46:47], v[190:191]              // 0000000086CC: D3B140BE 18037D2E
	v_cvt_pk_bf16_f32 v176, v176, v177                         // 0000000086D4: D26800B0 000363B0
	v_cvt_pk_bf16_f32 v177, v178, v179                         // 0000000086DC: D26800B1 000367B2
	v_cvt_pk_bf16_f32 v178, v180, v181                         // 0000000086E4: D26800B2 00036BB4
	v_cvt_pk_bf16_f32 v179, v182, v183                         // 0000000086EC: D26800B3 00036FB6
	v_cvt_pk_bf16_f32 v180, v184, v185                         // 0000000086F4: D26800B4 000373B8
	v_cvt_pk_bf16_f32 v181, v186, v187                         // 0000000086FC: D26800B5 000377BA
	v_cvt_pk_bf16_f32 v182, v188, v189                         // 000000008704: D26800B6 00037BBC
	v_cvt_pk_bf16_f32 v183, v190, v191                         // 00000000870C: D26800B7 00037FBE
	s_cmp_ge_u32 s80, 0x200                                    // 000000008714: BF09FF50 00000200
	s_cselect_b32 s59, 0x200, s59                              // 00000000871C: 853B3BFF 00000200
	s_waitcnt lgkmcnt(0)                                       // 000000008724: BF8CC07F
	s_barrier                                                  // 000000008728: BF8A0000
	s_setvskip s20, 0                                          // 00000000872C: BF108014
	global_atomic_pk_add_bf16 v80, v64, s[8:9]                 // 000000008730: DD488000 00084050
	s_setvskip 0, 0                                            // 000000008738: BF108080
	s_setvskip s20, 0                                          // 00000000873C: BF108014
	global_atomic_pk_add_bf16 v80, v65, s[8:9] offset:256      // 000000008740: DD488100 00084150
	s_setvskip 0, 0                                            // 000000008748: BF108080
	s_setvskip s20, 1                                          // 00000000874C: BF108114
	global_atomic_pk_add_bf16 v82, v66, s[8:9]                 // 000000008750: DD488000 00084252
	s_setvskip 0, 0                                            // 000000008758: BF108080
	s_setvskip s20, 1                                          // 00000000875C: BF108114
	global_atomic_pk_add_bf16 v82, v67, s[8:9] offset:256      // 000000008760: DD488100 00084352
	s_setvskip 0, 0                                            // 000000008768: BF108080
	s_setvskip s20, 2                                          // 00000000876C: BF108214
	global_atomic_pk_add_bf16 v84, v68, s[8:9]                 // 000000008770: DD488000 00084454
	s_setvskip 0, 0                                            // 000000008778: BF108080
	s_setvskip s20, 2                                          // 00000000877C: BF108214
	global_atomic_pk_add_bf16 v84, v69, s[8:9] offset:256      // 000000008780: DD488100 00084554
	s_setvskip 0, 0                                            // 000000008788: BF108080
	s_setvskip s20, 3                                          // 00000000878C: BF108314
	global_atomic_pk_add_bf16 v86, v70, s[8:9]                 // 000000008790: DD488000 00084656
	s_setvskip 0, 0                                            // 000000008798: BF108080
	s_setvskip s20, 3                                          // 00000000879C: BF108314
	global_atomic_pk_add_bf16 v86, v71, s[8:9] offset:256      // 0000000087A0: DD488100 00084756
	s_setvskip 0, 0                                            // 0000000087A8: BF108080
	s_add_u32 s8, s59, s8                                      // 0000000087AC: 8008083B
	s_addc_u32 s9, 0, s9                                       // 0000000087B0: 82090980
	s_addk_i32 s80, 0x100                                      // 0000000087B4: B7500100
	s_cmp_lt_i32 s80, s81                                      // 0000000087B8: BF045150
	s_cbranch_scc0 label_0CAD                                  // 0000000087BC: BF84F63D
	s_branch label_1178                                        // 0000000087C0: BF82FB07

00000000000087c4 <label_1671>:
	s_cmp_ge_u32 s59, 0                                        // 0000000087C4: BF09803B
	s_cselect_b32 s59, 0x200, s59                              // 0000000087C8: 853B3BFF 00000200
	s_waitcnt lgkmcnt(0)                                       // 0000000087D0: BF8CC07F
	s_barrier                                                  // 0000000087D4: BF8A0000
	s_cmp_eq_u32 s64, 0x100                                    // 0000000087D8: BF06FF40 00000100
	s_cbranch_scc0 label_16B5                                  // 0000000087E0: BF84003C
	ds_write_b64 v4, v[160:161] offset:11776                   // 0000000087E4: D89A2E00 0000A004
	ds_write_b64 v4, v[162:163] offset:13952                   // 0000000087EC: D89A3680 0000A204
	ds_write_b64 v4, v[164:165] offset:16128                   // 0000000087F4: D89A3F00 0000A404
	ds_write_b64 v4, v[166:167] offset:18304                   // 0000000087FC: D89A4780 0000A604
	s_waitcnt lgkmcnt(0)                                       // 000000008804: BF8CC07F
	s_barrier                                                  // 000000008808: BF8A0000
	ds_read_b32 v64, v5 offset:11776                           // 00000000880C: D86C2E00 40000005
	ds_read_b32 v65, v5 offset:16128                           // 000000008814: D86C3F00 41000005
	ds_read_b32 v66, v5 offset:11784                           // 00000000881C: D86C2E08 42000005
	ds_read_b32 v67, v5 offset:16136                           // 000000008824: D86C3F08 43000005
	ds_read_b32 v68, v5 offset:11808                           // 00000000882C: D86C2E20 44000005
	ds_read_b32 v69, v5 offset:16160                           // 000000008834: D86C3F20 45000005
	ds_read_b32 v70, v5 offset:11816                           // 00000000883C: D86C2E28 46000005
	ds_read_b32 v71, v5 offset:16168                           // 000000008844: D86C3F28 47000005
	s_waitcnt lgkmcnt(0)                                       // 00000000884C: BF8CC07F
	s_setvskip s20, 0                                          // 000000008850: BF108014
	global_atomic_pk_add_bf16 v80, v64, s[8:9]                 // 000000008854: DD488000 00084050
	s_setvskip 0, 0                                            // 00000000885C: BF108080
	s_setvskip s20, 0                                          // 000000008860: BF108014
	global_atomic_pk_add_bf16 v80, v65, s[8:9] offset:256      // 000000008864: DD488100 00084150
	s_setvskip 0, 0                                            // 00000000886C: BF108080
	s_setvskip s20, 1                                          // 000000008870: BF108114
	global_atomic_pk_add_bf16 v82, v66, s[8:9]                 // 000000008874: DD488000 00084252
	s_setvskip 0, 0                                            // 00000000887C: BF108080
	s_setvskip s20, 1                                          // 000000008880: BF108114
	global_atomic_pk_add_bf16 v82, v67, s[8:9] offset:256      // 000000008884: DD488100 00084352
	s_setvskip 0, 0                                            // 00000000888C: BF108080
	s_setvskip s20, 2                                          // 000000008890: BF108214
	global_atomic_pk_add_bf16 v84, v68, s[8:9]                 // 000000008894: DD488000 00084454
	s_setvskip 0, 0                                            // 00000000889C: BF108080
	s_setvskip s20, 2                                          // 0000000088A0: BF108214
	global_atomic_pk_add_bf16 v84, v69, s[8:9] offset:256      // 0000000088A4: DD488100 00084554
	s_setvskip 0, 0                                            // 0000000088AC: BF108080
	s_setvskip s20, 3                                          // 0000000088B0: BF108314
	global_atomic_pk_add_bf16 v86, v70, s[8:9]                 // 0000000088B4: DD488000 00084656
	s_setvskip 0, 0                                            // 0000000088BC: BF108080
	s_setvskip s20, 3                                          // 0000000088C0: BF108314
	global_atomic_pk_add_bf16 v86, v71, s[8:9] offset:256      // 0000000088C4: DD488100 00084756
	s_setvskip 0, 0                                            // 0000000088CC: BF108080
	s_branch label_1723                                        // 0000000088D0: BF82006E

00000000000088d4 <label_16B5>:
	ds_read_b32 v64, v5 offset:11776                           // 0000000088D4: D86C2E00 40000005
	ds_read_b32 v65, v5 offset:16128                           // 0000000088DC: D86C3F00 41000005
	ds_read_b32 v66, v5 offset:11784                           // 0000000088E4: D86C2E08 42000005
	ds_read_b32 v67, v5 offset:16136                           // 0000000088EC: D86C3F08 43000005
	ds_read_b32 v68, v5 offset:11808                           // 0000000088F4: D86C2E20 44000005
	ds_read_b32 v69, v5 offset:16160                           // 0000000088FC: D86C3F20 45000005
	ds_read_b32 v70, v5 offset:11816                           // 000000008904: D86C2E28 46000005
	ds_read_b32 v71, v5 offset:16168                           // 00000000890C: D86C3F28 47000005
	s_waitcnt lgkmcnt(0)                                       // 000000008914: BF8CC07F
	s_setvskip s20, 0                                          // 000000008918: BF108014
	global_atomic_pk_add_bf16 v80, v64, s[8:9]                 // 00000000891C: DD488000 00084050
	s_setvskip 0, 0                                            // 000000008924: BF108080
	s_setvskip s20, 0                                          // 000000008928: BF108014
	global_atomic_pk_add_bf16 v80, v65, s[8:9] offset:256      // 00000000892C: DD488100 00084150
	s_setvskip 0, 0                                            // 000000008934: BF108080
	s_setvskip s20, 1                                          // 000000008938: BF108114
	global_atomic_pk_add_bf16 v82, v66, s[8:9]                 // 00000000893C: DD488000 00084252
	s_setvskip 0, 0                                            // 000000008944: BF108080
	s_setvskip s20, 1                                          // 000000008948: BF108114
	global_atomic_pk_add_bf16 v82, v67, s[8:9] offset:256      // 00000000894C: DD488100 00084352
	s_setvskip 0, 0                                            // 000000008954: BF108080
	s_setvskip s20, 2                                          // 000000008958: BF108214
	global_atomic_pk_add_bf16 v84, v68, s[8:9]                 // 00000000895C: DD488000 00084454
	s_setvskip 0, 0                                            // 000000008964: BF108080
	s_setvskip s20, 2                                          // 000000008968: BF108214
	global_atomic_pk_add_bf16 v84, v69, s[8:9] offset:256      // 00000000896C: DD488100 00084554
	s_setvskip 0, 0                                            // 000000008974: BF108080
	s_setvskip s20, 3                                          // 000000008978: BF108314
	global_atomic_pk_add_bf16 v86, v70, s[8:9]                 // 00000000897C: DD488000 00084656
	s_setvskip 0, 0                                            // 000000008984: BF108080
	s_setvskip s20, 3                                          // 000000008988: BF108314
	global_atomic_pk_add_bf16 v86, v71, s[8:9] offset:256      // 00000000898C: DD488100 00084756
	s_setvskip 0, 0                                            // 000000008994: BF108080
	s_add_u32 s8, s59, s8                                      // 000000008998: 8008083B
	s_addc_u32 s9, 0, s9                                       // 00000000899C: 82090980
	ds_write_b64 v4, v[176:177] offset:29184                   // 0000000089A0: D89A7200 0000B004
	ds_write_b64 v4, v[178:179] offset:31360                   // 0000000089A8: D89A7A80 0000B204
	ds_write_b64 v4, v[180:181] offset:33536                   // 0000000089B0: D89A8300 0000B404
	ds_write_b64 v4, v[182:183] offset:35712                   // 0000000089B8: D89A8B80 0000B604
	s_waitcnt lgkmcnt(0)                                       // 0000000089C0: BF8CC07F
	s_barrier                                                  // 0000000089C4: BF8A0000
	ds_read_b32 v64, v5 offset:29184                           // 0000000089C8: D86C7200 40000005
	ds_read_b32 v65, v5 offset:33536                           // 0000000089D0: D86C8300 41000005
	ds_read_b32 v66, v5 offset:29192                           // 0000000089D8: D86C7208 42000005
	ds_read_b32 v67, v5 offset:33544                           // 0000000089E0: D86C8308 43000005
	ds_read_b32 v68, v5 offset:29216                           // 0000000089E8: D86C7220 44000005
	ds_read_b32 v69, v5 offset:33568                           // 0000000089F0: D86C8320 45000005
	ds_read_b32 v70, v5 offset:29224                           // 0000000089F8: D86C7228 46000005
	ds_read_b32 v71, v5 offset:33576                           // 000000008A00: D86C8328 47000005
	s_waitcnt lgkmcnt(0)                                       // 000000008A08: BF8CC07F
	s_setvskip s20, 0                                          // 000000008A0C: BF108014
	global_atomic_pk_add_bf16 v80, v64, s[8:9]                 // 000000008A10: DD488000 00084050
	s_setvskip 0, 0                                            // 000000008A18: BF108080
	s_setvskip s20, 0                                          // 000000008A1C: BF108014
	global_atomic_pk_add_bf16 v80, v65, s[8:9] offset:256      // 000000008A20: DD488100 00084150
	s_setvskip 0, 0                                            // 000000008A28: BF108080
	s_setvskip s20, 1                                          // 000000008A2C: BF108114
	global_atomic_pk_add_bf16 v82, v66, s[8:9]                 // 000000008A30: DD488000 00084252
	s_setvskip 0, 0                                            // 000000008A38: BF108080
	s_setvskip s20, 1                                          // 000000008A3C: BF108114
	global_atomic_pk_add_bf16 v82, v67, s[8:9] offset:256      // 000000008A40: DD488100 00084352
	s_setvskip 0, 0                                            // 000000008A48: BF108080
	s_setvskip s20, 2                                          // 000000008A4C: BF108214
	global_atomic_pk_add_bf16 v84, v68, s[8:9]                 // 000000008A50: DD488000 00084454
	s_setvskip 0, 0                                            // 000000008A58: BF108080
	s_setvskip s20, 2                                          // 000000008A5C: BF108214
	global_atomic_pk_add_bf16 v84, v69, s[8:9] offset:256      // 000000008A60: DD488100 00084554
	s_setvskip 0, 0                                            // 000000008A68: BF108080
	s_setvskip s20, 3                                          // 000000008A6C: BF108314
	global_atomic_pk_add_bf16 v86, v70, s[8:9]                 // 000000008A70: DD488000 00084656
	s_setvskip 0, 0                                            // 000000008A78: BF108080
	s_setvskip s20, 3                                          // 000000008A7C: BF108314
	global_atomic_pk_add_bf16 v86, v71, s[8:9] offset:256      // 000000008A80: DD488100 00084756
	s_setvskip 0, 0                                            // 000000008A88: BF108080

0000000000008a8c <label_1723>:
	s_waitcnt vmcnt(0) expcnt(0) lgkmcnt(0)                    // 000000008A8C: BF8C0000
	s_endpgm                                                   // 000000008A90: BF810000
